;; amdgpu-corpus repo=ROCm/rocFFT kind=compiled arch=gfx950 opt=O3
	.text
	.amdgcn_target "amdgcn-amd-amdhsa--gfx950"
	.amdhsa_code_object_version 6
	.protected	fft_rtc_back_len1092_factors_2_2_13_7_3_wgs_52_tpt_52_halfLds_sp_ip_CI_unitstride_sbrr_C2R_dirReg ; -- Begin function fft_rtc_back_len1092_factors_2_2_13_7_3_wgs_52_tpt_52_halfLds_sp_ip_CI_unitstride_sbrr_C2R_dirReg
	.globl	fft_rtc_back_len1092_factors_2_2_13_7_3_wgs_52_tpt_52_halfLds_sp_ip_CI_unitstride_sbrr_C2R_dirReg
	.p2align	8
	.type	fft_rtc_back_len1092_factors_2_2_13_7_3_wgs_52_tpt_52_halfLds_sp_ip_CI_unitstride_sbrr_C2R_dirReg,@function
fft_rtc_back_len1092_factors_2_2_13_7_3_wgs_52_tpt_52_halfLds_sp_ip_CI_unitstride_sbrr_C2R_dirReg: ; @fft_rtc_back_len1092_factors_2_2_13_7_3_wgs_52_tpt_52_halfLds_sp_ip_CI_unitstride_sbrr_C2R_dirReg
; %bb.0:
	s_load_dwordx2 s[8:9], s[0:1], 0x50
	s_load_dwordx4 s[4:7], s[0:1], 0x0
	s_load_dwordx2 s[10:11], s[0:1], 0x18
	v_mul_u32_u24_e32 v1, 0x4ed, v0
	v_add_u32_sdwa v6, s2, v1 dst_sel:DWORD dst_unused:UNUSED_PAD src0_sel:DWORD src1_sel:WORD_1
	v_mov_b32_e32 v4, 0
	s_waitcnt lgkmcnt(0)
	v_cmp_lt_u64_e64 s[2:3], s[6:7], 2
	v_mov_b32_e32 v7, v4
	s_and_b64 vcc, exec, s[2:3]
	v_mov_b64_e32 v[2:3], 0
	s_cbranch_vccnz .LBB0_8
; %bb.1:
	s_load_dwordx2 s[2:3], s[0:1], 0x10
	s_add_u32 s12, s10, 8
	s_addc_u32 s13, s11, 0
	s_mov_b64 s[14:15], 1
	v_mov_b64_e32 v[2:3], 0
	s_waitcnt lgkmcnt(0)
	s_add_u32 s16, s2, 8
	s_addc_u32 s17, s3, 0
.LBB0_2:                                ; =>This Inner Loop Header: Depth=1
	s_load_dwordx2 s[18:19], s[16:17], 0x0
                                        ; implicit-def: $vgpr8_vgpr9
	s_waitcnt lgkmcnt(0)
	v_or_b32_e32 v5, s19, v7
	v_cmp_ne_u64_e32 vcc, 0, v[4:5]
	s_and_saveexec_b64 s[2:3], vcc
	s_xor_b64 s[20:21], exec, s[2:3]
	s_cbranch_execz .LBB0_4
; %bb.3:                                ;   in Loop: Header=BB0_2 Depth=1
	v_cvt_f32_u32_e32 v1, s18
	v_cvt_f32_u32_e32 v5, s19
	s_sub_u32 s2, 0, s18
	s_subb_u32 s3, 0, s19
	v_fmac_f32_e32 v1, 0x4f800000, v5
	v_rcp_f32_e32 v1, v1
	s_nop 0
	v_mul_f32_e32 v1, 0x5f7ffffc, v1
	v_mul_f32_e32 v5, 0x2f800000, v1
	v_trunc_f32_e32 v5, v5
	v_fmac_f32_e32 v1, 0xcf800000, v5
	v_cvt_u32_f32_e32 v5, v5
	v_cvt_u32_f32_e32 v1, v1
	v_mul_lo_u32 v8, s2, v5
	v_mul_hi_u32 v10, s2, v1
	v_mul_lo_u32 v9, s3, v1
	v_add_u32_e32 v10, v10, v8
	v_mul_lo_u32 v12, s2, v1
	v_add_u32_e32 v13, v10, v9
	v_mul_hi_u32 v8, v1, v12
	v_mul_hi_u32 v11, v1, v13
	v_mul_lo_u32 v10, v1, v13
	v_mov_b32_e32 v9, v4
	v_lshl_add_u64 v[8:9], v[8:9], 0, v[10:11]
	v_mul_hi_u32 v11, v5, v12
	v_mul_lo_u32 v12, v5, v12
	v_add_co_u32_e32 v8, vcc, v8, v12
	v_mul_hi_u32 v10, v5, v13
	s_nop 0
	v_addc_co_u32_e32 v8, vcc, v9, v11, vcc
	v_mov_b32_e32 v9, v4
	s_nop 0
	v_addc_co_u32_e32 v11, vcc, 0, v10, vcc
	v_mul_lo_u32 v10, v5, v13
	v_lshl_add_u64 v[8:9], v[8:9], 0, v[10:11]
	v_add_co_u32_e32 v1, vcc, v1, v8
	v_mul_lo_u32 v10, s2, v1
	s_nop 0
	v_addc_co_u32_e32 v5, vcc, v5, v9, vcc
	v_mul_lo_u32 v8, s2, v5
	v_mul_hi_u32 v9, s2, v1
	v_add_u32_e32 v8, v9, v8
	v_mul_lo_u32 v9, s3, v1
	v_add_u32_e32 v12, v8, v9
	v_mul_hi_u32 v14, v5, v10
	v_mul_lo_u32 v15, v5, v10
	v_mul_hi_u32 v9, v1, v12
	v_mul_lo_u32 v8, v1, v12
	v_mul_hi_u32 v10, v1, v10
	v_mov_b32_e32 v11, v4
	v_lshl_add_u64 v[8:9], v[10:11], 0, v[8:9]
	v_add_co_u32_e32 v8, vcc, v8, v15
	v_mul_hi_u32 v13, v5, v12
	s_nop 0
	v_addc_co_u32_e32 v8, vcc, v9, v14, vcc
	v_mul_lo_u32 v10, v5, v12
	s_nop 0
	v_addc_co_u32_e32 v11, vcc, 0, v13, vcc
	v_mov_b32_e32 v9, v4
	v_lshl_add_u64 v[8:9], v[8:9], 0, v[10:11]
	v_add_co_u32_e32 v1, vcc, v1, v8
	v_mul_hi_u32 v10, v6, v1
	s_nop 0
	v_addc_co_u32_e32 v5, vcc, v5, v9, vcc
	v_mad_u64_u32 v[8:9], s[2:3], v6, v5, 0
	v_mov_b32_e32 v11, v4
	v_lshl_add_u64 v[8:9], v[10:11], 0, v[8:9]
	v_mad_u64_u32 v[12:13], s[2:3], v7, v1, 0
	v_add_co_u32_e32 v1, vcc, v8, v12
	v_mad_u64_u32 v[10:11], s[2:3], v7, v5, 0
	s_nop 0
	v_addc_co_u32_e32 v8, vcc, v9, v13, vcc
	v_mov_b32_e32 v9, v4
	s_nop 0
	v_addc_co_u32_e32 v11, vcc, 0, v11, vcc
	v_lshl_add_u64 v[8:9], v[8:9], 0, v[10:11]
	v_mul_lo_u32 v1, s19, v8
	v_mul_lo_u32 v5, s18, v9
	v_mad_u64_u32 v[10:11], s[2:3], s18, v8, 0
	v_add3_u32 v1, v11, v5, v1
	v_sub_u32_e32 v5, v7, v1
	v_mov_b32_e32 v11, s19
	v_sub_co_u32_e32 v14, vcc, v6, v10
	v_lshl_add_u64 v[12:13], v[8:9], 0, 1
	s_nop 0
	v_subb_co_u32_e64 v5, s[2:3], v5, v11, vcc
	v_subrev_co_u32_e64 v10, s[2:3], s18, v14
	v_subb_co_u32_e32 v1, vcc, v7, v1, vcc
	s_nop 0
	v_subbrev_co_u32_e64 v5, s[2:3], 0, v5, s[2:3]
	v_cmp_le_u32_e64 s[2:3], s19, v5
	v_cmp_le_u32_e32 vcc, s19, v1
	s_nop 0
	v_cndmask_b32_e64 v11, 0, -1, s[2:3]
	v_cmp_le_u32_e64 s[2:3], s18, v10
	s_nop 1
	v_cndmask_b32_e64 v10, 0, -1, s[2:3]
	v_cmp_eq_u32_e64 s[2:3], s19, v5
	s_nop 1
	v_cndmask_b32_e64 v5, v11, v10, s[2:3]
	v_lshl_add_u64 v[10:11], v[8:9], 0, 2
	v_cmp_ne_u32_e64 s[2:3], 0, v5
	s_nop 1
	v_cndmask_b32_e64 v5, v13, v11, s[2:3]
	v_cndmask_b32_e64 v11, 0, -1, vcc
	v_cmp_le_u32_e32 vcc, s18, v14
	s_nop 1
	v_cndmask_b32_e64 v13, 0, -1, vcc
	v_cmp_eq_u32_e32 vcc, s19, v1
	s_nop 1
	v_cndmask_b32_e32 v1, v11, v13, vcc
	v_cmp_ne_u32_e32 vcc, 0, v1
	v_cndmask_b32_e64 v1, v12, v10, s[2:3]
	s_nop 0
	v_cndmask_b32_e32 v9, v9, v5, vcc
	v_cndmask_b32_e32 v8, v8, v1, vcc
.LBB0_4:                                ;   in Loop: Header=BB0_2 Depth=1
	s_andn2_saveexec_b64 s[2:3], s[20:21]
	s_cbranch_execz .LBB0_6
; %bb.5:                                ;   in Loop: Header=BB0_2 Depth=1
	v_cvt_f32_u32_e32 v1, s18
	s_sub_i32 s20, 0, s18
	v_rcp_iflag_f32_e32 v1, v1
	s_nop 0
	v_mul_f32_e32 v1, 0x4f7ffffe, v1
	v_cvt_u32_f32_e32 v1, v1
	v_mul_lo_u32 v5, s20, v1
	v_mul_hi_u32 v5, v1, v5
	v_add_u32_e32 v1, v1, v5
	v_mul_hi_u32 v1, v6, v1
	v_mul_lo_u32 v5, v1, s18
	v_sub_u32_e32 v5, v6, v5
	v_add_u32_e32 v8, 1, v1
	v_subrev_u32_e32 v9, s18, v5
	v_cmp_le_u32_e32 vcc, s18, v5
	s_nop 1
	v_cndmask_b32_e32 v5, v5, v9, vcc
	v_cndmask_b32_e32 v1, v1, v8, vcc
	v_add_u32_e32 v8, 1, v1
	v_cmp_le_u32_e32 vcc, s18, v5
	v_mov_b32_e32 v9, v4
	s_nop 0
	v_cndmask_b32_e32 v8, v1, v8, vcc
.LBB0_6:                                ;   in Loop: Header=BB0_2 Depth=1
	s_or_b64 exec, exec, s[2:3]
	v_mad_u64_u32 v[10:11], s[2:3], v8, s18, 0
	s_load_dwordx2 s[2:3], s[12:13], 0x0
	v_mul_lo_u32 v1, v9, s18
	v_mul_lo_u32 v5, v8, s19
	v_add3_u32 v1, v11, v5, v1
	v_sub_co_u32_e32 v5, vcc, v6, v10
	s_add_u32 s14, s14, 1
	s_nop 0
	v_subb_co_u32_e32 v1, vcc, v7, v1, vcc
	s_addc_u32 s15, s15, 0
	s_waitcnt lgkmcnt(0)
	v_mul_lo_u32 v1, s2, v1
	v_mul_lo_u32 v6, s3, v5
	v_mad_u64_u32 v[2:3], s[2:3], s2, v5, v[2:3]
	s_add_u32 s12, s12, 8
	v_add3_u32 v3, v6, v3, v1
	s_addc_u32 s13, s13, 0
	v_mov_b64_e32 v[6:7], s[6:7]
	s_add_u32 s16, s16, 8
	v_cmp_ge_u64_e32 vcc, s[14:15], v[6:7]
	s_addc_u32 s17, s17, 0
	s_cbranch_vccnz .LBB0_9
; %bb.7:                                ;   in Loop: Header=BB0_2 Depth=1
	v_mov_b64_e32 v[6:7], v[8:9]
	s_branch .LBB0_2
.LBB0_8:
	v_mov_b64_e32 v[8:9], v[6:7]
.LBB0_9:
	s_lshl_b64 s[2:3], s[6:7], 3
	s_add_u32 s2, s10, s2
	s_addc_u32 s3, s11, s3
	s_load_dwordx2 s[6:7], s[2:3], 0x0
	s_load_dwordx2 s[10:11], s[0:1], 0x20
	s_mov_b32 s2, 0x4ec4ec5
	s_waitcnt lgkmcnt(0)
	v_mul_lo_u32 v1, s6, v9
	v_mul_lo_u32 v4, s7, v8
	v_mad_u64_u32 v[2:3], s[0:1], s6, v8, v[2:3]
	v_add3_u32 v3, v4, v3, v1
	v_mul_hi_u32 v1, v0, s2
	v_mul_u32_u24_e32 v1, 52, v1
	v_cmp_gt_u64_e64 s[0:1], s[10:11], v[8:9]
	v_sub_u32_e32 v74, v0, v1
	v_lshl_add_u64 v[72:73], v[2:3], 3, s[8:9]
	s_and_saveexec_b64 s[2:3], s[0:1]
	s_cbranch_execz .LBB0_13
; %bb.10:
	v_mov_b32_e32 v75, 0
	v_lshl_add_u64 v[0:1], v[74:75], 3, v[72:73]
	s_movk_i32 s6, 0x1000
	v_add_co_u32_e32 v18, vcc, s6, v0
	v_or_b32_e32 v36, 0x340, v74
	s_nop 0
	v_addc_co_u32_e32 v19, vcc, 0, v1, vcc
	v_mov_b32_e32 v37, v75
	global_load_dwordx2 v[2:3], v[0:1], off
	global_load_dwordx2 v[4:5], v[0:1], off offset:416
	global_load_dwordx2 v[6:7], v[0:1], off offset:832
	;; [unrolled: 1-line block ×15, first 2 shown]
	v_lshl_add_u64 v[36:37], v[36:37], 3, v[72:73]
	global_load_dwordx2 v[38:39], v[18:19], off offset:2976
	global_load_dwordx2 v[40:41], v[18:19], off offset:3392
	global_load_dwordx2 v[42:43], v[36:37], off
	global_load_dwordx2 v[44:45], v[18:19], off offset:3808
	v_add_co_u32_e32 v0, vcc, 0x2000, v0
	v_lshl_add_u32 v18, v74, 3, 0
	s_nop 0
	v_addc_co_u32_e32 v1, vcc, 0, v1, vcc
	global_load_dwordx2 v[0:1], v[0:1], off offset:128
	v_cmp_eq_u32_e32 vcc, 51, v74
	v_add_u32_e32 v19, 0x400, v18
	v_add_u32_e32 v36, 0x800, v18
	;; [unrolled: 1-line block ×5, first 2 shown]
	s_waitcnt vmcnt(19)
	ds_write2_b64 v18, v[2:3], v[4:5] offset1:52
	s_waitcnt vmcnt(17)
	ds_write2_b64 v18, v[6:7], v[8:9] offset0:104 offset1:156
	s_waitcnt vmcnt(15)
	ds_write2_b64 v19, v[10:11], v[12:13] offset0:80 offset1:132
	;; [unrolled: 2-line block ×9, first 2 shown]
	s_waitcnt vmcnt(0)
	ds_write_b64 v18, v[0:1] offset:8320
	s_and_saveexec_b64 s[6:7], vcc
	s_cbranch_execz .LBB0_12
; %bb.11:
	v_add_co_u32_e32 v0, vcc, 0x2000, v72
	v_mov_b32_e32 v74, 51
	s_nop 0
	v_addc_co_u32_e32 v1, vcc, 0, v73, vcc
	global_load_dwordx2 v[0:1], v[0:1], off offset:544
	s_waitcnt vmcnt(0)
	ds_write_b64 v75, v[0:1] offset:8736
.LBB0_12:
	s_or_b64 exec, exec, s[6:7]
.LBB0_13:
	s_or_b64 exec, exec, s[2:3]
	v_lshlrev_b32_e32 v0, 3, v74
	v_add_u32_e32 v114, 0, v0
	s_waitcnt lgkmcnt(0)
	; wave barrier
	s_waitcnt lgkmcnt(0)
	v_sub_u32_e32 v4, 0, v0
	ds_read_b32 v0, v114
	ds_read_b32 v1, v4 offset:8736
	s_add_u32 s2, s4, 0x2210
	s_addc_u32 s3, s5, 0
	v_cmp_ne_u32_e32 vcc, 0, v74
	s_waitcnt lgkmcnt(0)
	v_add_f32_e32 v2, v1, v0
	v_sub_f32_e32 v3, v0, v1
                                        ; implicit-def: $vgpr0_vgpr1
	s_and_saveexec_b64 s[6:7], vcc
	s_xor_b64 s[6:7], exec, s[6:7]
	s_cbranch_execz .LBB0_15
; %bb.14:
	v_mov_b32_e32 v75, 0
	v_lshl_add_u64 v[0:1], v[74:75], 3, s[2:3]
	global_load_dwordx2 v[6:7], v[0:1], off
	ds_read_b32 v5, v4 offset:8740
	ds_read_b32 v11, v114 offset:4
	v_mov_b32_e32 v8, v3
	v_mov_b32_e32 v10, v2
	;; [unrolled: 1-line block ×3, first 2 shown]
	v_mov_b64_e32 v[0:1], v[74:75]
	s_waitcnt lgkmcnt(0)
	v_add_f32_e32 v9, v5, v11
	v_sub_f32_e32 v11, v11, v5
	v_mov_b32_e32 v12, v9
	s_waitcnt vmcnt(0)
	v_pk_mul_f32 v[14:15], v[8:9], v[6:7] op_sel:[0,1]
	v_pk_fma_f32 v[8:9], v[8:9], v[6:7], v[10:11] op_sel:[0,1,0]
	v_mov_b32_e32 v3, v15
	v_mov_b32_e32 v15, v11
	v_pk_fma_f32 v[16:17], v[6:7], v[12:13], v[8:9] neg_lo:[1,0,0] neg_hi:[1,0,0]
	v_pk_fma_f32 v[8:9], v[6:7], v[12:13], v[8:9] op_sel_hi:[0,1,1]
	v_pk_add_f32 v[2:3], v[2:3], v[14:15] neg_lo:[0,1] neg_hi:[0,1]
	v_mov_b32_e32 v17, v9
	v_pk_fma_f32 v[2:3], v[6:7], v[12:13], v[2:3] op_sel_hi:[0,1,1]
	ds_write_b64 v4, v[2:3] offset:8736
	v_mov_b64_e32 v[2:3], v[16:17]
.LBB0_15:
	s_andn2_saveexec_b64 s[6:7], s[6:7]
	s_cbranch_execz .LBB0_17
; %bb.16:
	v_mov_b32_e32 v5, 0
	ds_read_b64 v[0:1], v5 offset:4368
	s_mov_b32 s8, 2.0
	s_mov_b32 s9, -2.0
	s_waitcnt lgkmcnt(0)
	v_pk_mul_f32 v[0:1], v[0:1], s[8:9]
	ds_write_b64 v5, v[0:1] offset:4368
	v_mov_b64_e32 v[0:1], 0
.LBB0_17:
	s_or_b64 exec, exec, s[6:7]
	v_lshl_add_u64 v[0:1], v[0:1], 3, s[2:3]
	global_load_dwordx2 v[6:7], v[0:1], off offset:416
	global_load_dwordx2 v[8:9], v[0:1], off offset:832
	;; [unrolled: 1-line block ×4, first 2 shown]
	ds_write_b64 v114, v[2:3]
	ds_read_b64 v[2:3], v4 offset:8320
	ds_read_b64 v[14:15], v114 offset:416
	global_load_dwordx2 v[16:17], v[0:1], off offset:2080
	v_cmp_gt_u32_e64 s[2:3], 26, v74
	s_waitcnt lgkmcnt(0)
	v_pk_add_f32 v[18:19], v[14:15], v[2:3]
	v_pk_add_f32 v[2:3], v[14:15], v[2:3] neg_lo:[0,1] neg_hi:[0,1]
	v_mov_b32_e32 v14, v19
	v_mov_b32_e32 v15, v2
	v_mov_b32_e32 v19, v3
	s_waitcnt vmcnt(4)
	v_pk_mul_f32 v[20:21], v[14:15], v[6:7] op_sel:[0,1]
	s_nop 0
	v_pk_add_f32 v[22:23], v[18:19], v[20:21] op_sel:[0,1] op_sel_hi:[1,0]
	v_mov_b32_e32 v19, v20
	v_mov_b32_e32 v2, v21
	v_pk_fma_f32 v[20:21], v[6:7], v[14:15], v[22:23] neg_lo:[1,0,0] neg_hi:[1,0,0]
	v_pk_fma_f32 v[22:23], v[6:7], v[14:15], v[22:23] op_sel_hi:[0,1,1]
	v_pk_add_f32 v[2:3], v[18:19], v[2:3] neg_lo:[0,1] neg_hi:[0,1]
	v_mov_b32_e32 v21, v23
	v_pk_fma_f32 v[2:3], v[6:7], v[14:15], v[2:3] op_sel_hi:[0,1,1]
	ds_write_b64 v114, v[20:21] offset:416
	ds_write_b64 v4, v[2:3] offset:8320
	ds_read_b64 v[2:3], v4 offset:7904
	ds_read_b64 v[6:7], v114 offset:832
	global_load_dwordx2 v[14:15], v[0:1], off offset:2496
	s_waitcnt lgkmcnt(0)
	v_pk_add_f32 v[18:19], v[6:7], v[2:3]
	v_pk_add_f32 v[2:3], v[6:7], v[2:3] neg_lo:[0,1] neg_hi:[0,1]
	v_mov_b32_e32 v6, v19
	v_mov_b32_e32 v7, v2
	v_mov_b32_e32 v19, v3
	s_waitcnt vmcnt(4)
	v_pk_mul_f32 v[20:21], v[6:7], v[8:9] op_sel:[0,1]
	s_nop 0
	v_pk_add_f32 v[22:23], v[18:19], v[20:21] op_sel:[0,1] op_sel_hi:[1,0]
	v_mov_b32_e32 v19, v20
	v_mov_b32_e32 v2, v21
	v_pk_fma_f32 v[20:21], v[8:9], v[6:7], v[22:23] neg_lo:[1,0,0] neg_hi:[1,0,0]
	v_pk_fma_f32 v[22:23], v[8:9], v[6:7], v[22:23] op_sel_hi:[0,1,1]
	v_pk_add_f32 v[2:3], v[18:19], v[2:3] neg_lo:[0,1] neg_hi:[0,1]
	v_mov_b32_e32 v21, v23
	v_pk_fma_f32 v[2:3], v[8:9], v[6:7], v[2:3] op_sel_hi:[0,1,1]
	ds_write_b64 v114, v[20:21] offset:832
	ds_write_b64 v4, v[2:3] offset:7904
	ds_read_b64 v[2:3], v4 offset:7488
	ds_read_b64 v[6:7], v114 offset:1248
	global_load_dwordx2 v[8:9], v[0:1], off offset:2912
	;; [unrolled: 22-line block ×4, first 2 shown]
	s_waitcnt lgkmcnt(0)
	v_pk_add_f32 v[18:19], v[6:7], v[2:3]
	v_pk_add_f32 v[2:3], v[6:7], v[2:3] neg_lo:[0,1] neg_hi:[0,1]
	v_mov_b32_e32 v6, v19
	v_mov_b32_e32 v7, v2
	v_mov_b32_e32 v19, v3
	s_waitcnt vmcnt(4)
	v_pk_mul_f32 v[20:21], v[6:7], v[16:17] op_sel:[0,1]
	s_nop 0
	v_pk_add_f32 v[22:23], v[18:19], v[20:21] op_sel:[0,1] op_sel_hi:[1,0]
	v_mov_b32_e32 v19, v20
	v_mov_b32_e32 v2, v21
	v_pk_fma_f32 v[20:21], v[16:17], v[6:7], v[22:23] neg_lo:[1,0,0] neg_hi:[1,0,0]
	v_pk_fma_f32 v[22:23], v[16:17], v[6:7], v[22:23] op_sel_hi:[0,1,1]
	v_pk_add_f32 v[2:3], v[18:19], v[2:3] neg_lo:[0,1] neg_hi:[0,1]
	v_mov_b32_e32 v21, v23
	v_pk_fma_f32 v[2:3], v[16:17], v[6:7], v[2:3] op_sel_hi:[0,1,1]
	ds_write_b64 v114, v[20:21] offset:2080
	ds_write_b64 v4, v[2:3] offset:6656
	ds_read_b64 v[2:3], v4 offset:6240
	ds_read_b64 v[6:7], v114 offset:2496
	s_waitcnt lgkmcnt(0)
	v_pk_add_f32 v[16:17], v[6:7], v[2:3]
	v_pk_add_f32 v[2:3], v[6:7], v[2:3] neg_lo:[0,1] neg_hi:[0,1]
	v_mov_b32_e32 v6, v17
	v_mov_b32_e32 v7, v2
	v_mov_b32_e32 v17, v3
	s_waitcnt vmcnt(3)
	v_pk_mul_f32 v[18:19], v[6:7], v[14:15] op_sel:[0,1]
	s_nop 0
	v_pk_add_f32 v[20:21], v[16:17], v[18:19] op_sel:[0,1] op_sel_hi:[1,0]
	v_mov_b32_e32 v17, v18
	v_mov_b32_e32 v2, v19
	v_pk_fma_f32 v[18:19], v[14:15], v[6:7], v[20:21] neg_lo:[1,0,0] neg_hi:[1,0,0]
	v_pk_fma_f32 v[20:21], v[14:15], v[6:7], v[20:21] op_sel_hi:[0,1,1]
	v_pk_add_f32 v[2:3], v[16:17], v[2:3] neg_lo:[0,1] neg_hi:[0,1]
	v_mov_b32_e32 v19, v21
	v_pk_fma_f32 v[2:3], v[14:15], v[6:7], v[2:3] op_sel_hi:[0,1,1]
	ds_write_b64 v114, v[18:19] offset:2496
	ds_write_b64 v4, v[2:3] offset:6240
	ds_read_b64 v[2:3], v4 offset:5824
	ds_read_b64 v[6:7], v114 offset:2912
	;; [unrolled: 21-line block ×4, first 2 shown]
	s_waitcnt lgkmcnt(0)
	v_pk_add_f32 v[8:9], v[6:7], v[2:3]
	v_pk_add_f32 v[2:3], v[6:7], v[2:3] neg_lo:[0,1] neg_hi:[0,1]
	v_mov_b32_e32 v6, v9
	v_mov_b32_e32 v7, v2
	;; [unrolled: 1-line block ×3, first 2 shown]
	s_waitcnt vmcnt(0)
	v_pk_mul_f32 v[10:11], v[6:7], v[12:13] op_sel:[0,1]
	s_nop 0
	v_pk_add_f32 v[14:15], v[8:9], v[10:11] op_sel:[0,1] op_sel_hi:[1,0]
	v_mov_b32_e32 v9, v10
	v_mov_b32_e32 v2, v11
	v_pk_fma_f32 v[10:11], v[12:13], v[6:7], v[14:15] neg_lo:[1,0,0] neg_hi:[1,0,0]
	v_pk_fma_f32 v[14:15], v[12:13], v[6:7], v[14:15] op_sel_hi:[0,1,1]
	v_pk_add_f32 v[2:3], v[8:9], v[2:3] neg_lo:[0,1] neg_hi:[0,1]
	v_mov_b32_e32 v11, v15
	v_pk_fma_f32 v[2:3], v[12:13], v[6:7], v[2:3] op_sel_hi:[0,1,1]
	ds_write_b64 v114, v[10:11] offset:3744
	ds_write_b64 v4, v[2:3] offset:4992
	s_and_saveexec_b64 s[6:7], s[2:3]
	s_cbranch_execz .LBB0_19
; %bb.18:
	v_add_co_u32_e32 v0, vcc, 0x1000, v0
	s_nop 1
	v_addc_co_u32_e32 v1, vcc, 0, v1, vcc
	global_load_dwordx2 v[0:1], v[0:1], off offset:64
	ds_read_b64 v[2:3], v4 offset:4576
	ds_read_b64 v[6:7], v114 offset:4160
	s_waitcnt lgkmcnt(0)
	v_pk_add_f32 v[8:9], v[6:7], v[2:3]
	v_pk_add_f32 v[2:3], v[6:7], v[2:3] neg_lo:[0,1] neg_hi:[0,1]
	v_mov_b32_e32 v6, v9
	v_mov_b32_e32 v7, v2
	;; [unrolled: 1-line block ×3, first 2 shown]
	s_waitcnt vmcnt(0)
	v_pk_mul_f32 v[10:11], v[6:7], v[0:1] op_sel:[0,1]
	s_nop 0
	v_pk_add_f32 v[12:13], v[8:9], v[10:11] op_sel:[0,1] op_sel_hi:[1,0]
	v_mov_b32_e32 v9, v10
	v_mov_b32_e32 v2, v11
	v_pk_fma_f32 v[10:11], v[0:1], v[6:7], v[12:13] neg_lo:[1,0,0] neg_hi:[1,0,0]
	v_pk_fma_f32 v[12:13], v[0:1], v[6:7], v[12:13] op_sel_hi:[0,1,1]
	v_pk_add_f32 v[2:3], v[8:9], v[2:3] neg_lo:[0,1] neg_hi:[0,1]
	v_mov_b32_e32 v11, v13
	v_pk_fma_f32 v[0:1], v[0:1], v[6:7], v[2:3] op_sel_hi:[0,1,1]
	ds_write_b64 v114, v[10:11] offset:4160
	ds_write_b64 v4, v[0:1] offset:4576
.LBB0_19:
	s_or_b64 exec, exec, s[6:7]
	v_add_u32_e32 v0, 0x1000, v114
	s_waitcnt lgkmcnt(0)
	; wave barrier
	s_waitcnt lgkmcnt(0)
	s_waitcnt lgkmcnt(0)
	; wave barrier
	s_waitcnt lgkmcnt(0)
	ds_read2_b64 v[4:7], v0 offset0:8 offset1:34
	ds_read2_b64 v[8:11], v114 offset1:52
	v_add_u32_e32 v3, 0x1c00, v114
	ds_read2_b64 v[14:17], v3 offset0:118 offset1:170
	ds_read2_b64 v[18:21], v0 offset0:86 offset1:138
	;; [unrolled: 1-line block ×4, first 2 shown]
	v_add_u32_e32 v12, 0x1800, v114
	s_waitcnt lgkmcnt(4)
	v_pk_add_f32 v[6:7], v[8:9], v[6:7] neg_lo:[0,1] neg_hi:[0,1]
	ds_read2_b64 v[34:37], v12 offset0:38 offset1:90
	v_pk_fma_f32 v[42:43], v[8:9], 2.0, v[6:7] op_sel_hi:[1,0,1] neg_lo:[0,0,1] neg_hi:[0,0,1]
	v_add_u32_e32 v8, 0x400, v114
	ds_read2_b64 v[30:33], v8 offset0:80 offset1:132
	v_add_u32_e32 v13, 0x800, v114
	v_lshl_add_u32 v3, v74, 3, v114
	ds_read2_b64 v[38:41], v13 offset0:56 offset1:108
	ds_read2_b64 v[50:53], v12 offset0:142 offset1:194
	;; [unrolled: 1-line block ×3, first 2 shown]
	v_add_u32_e32 v77, 52, v74
	s_waitcnt lgkmcnt(0)
	; wave barrier
	s_waitcnt lgkmcnt(0)
	ds_write2_b64 v3, v[42:43], v[6:7] offset1:1
	v_pk_add_f32 v[6:7], v[10:11], v[18:19] neg_lo:[0,1] neg_hi:[0,1]
	v_lshl_add_u32 v9, v77, 4, 0
	v_pk_fma_f32 v[10:11], v[10:11], 2.0, v[6:7] op_sel_hi:[1,0,1] neg_lo:[0,0,1] neg_hi:[0,0,1]
	v_pk_add_f32 v[16:17], v[4:5], v[16:17] neg_lo:[0,1] neg_hi:[0,1]
	v_add_u32_e32 v75, 0x68, v74
	ds_write2_b64 v9, v[10:11], v[6:7] offset1:1
	v_pk_fma_f32 v[42:43], v[4:5], 2.0, v[16:17] op_sel_hi:[1,0,1] neg_lo:[0,0,1] neg_hi:[0,0,1]
	v_pk_add_f32 v[4:5], v[22:23], v[20:21] neg_lo:[0,1] neg_hi:[0,1]
	v_pk_add_f32 v[10:11], v[24:25], v[26:27] neg_lo:[0,1] neg_hi:[0,1]
	v_add_u32_e32 v1, 0x9c, v74
	v_lshl_add_u32 v9, v75, 4, 0
	v_pk_fma_f32 v[6:7], v[22:23], 2.0, v[4:5] op_sel_hi:[1,0,1] neg_lo:[0,0,1] neg_hi:[0,0,1]
	v_pk_fma_f32 v[18:19], v[24:25], 2.0, v[10:11] op_sel_hi:[1,0,1] neg_lo:[0,0,1] neg_hi:[0,0,1]
	v_pk_add_f32 v[24:25], v[32:33], v[34:35] neg_lo:[0,1] neg_hi:[0,1]
	v_add_u32_e32 v2, 0xd0, v74
	v_add_u32_e32 v3, 0x104, v74
	;; [unrolled: 1-line block ×7, first 2 shown]
	v_pk_add_f32 v[20:21], v[30:31], v[28:29] neg_lo:[0,1] neg_hi:[0,1]
	v_pk_fma_f32 v[26:27], v[32:33], 2.0, v[24:25] op_sel_hi:[1,0,1] neg_lo:[0,0,1] neg_hi:[0,0,1]
	v_lshl_add_u32 v47, v1, 4, 0
	v_pk_add_f32 v[28:29], v[38:39], v[36:37] neg_lo:[0,1] neg_hi:[0,1]
	ds_write2_b64 v9, v[6:7], v[4:5] offset1:1
	v_pk_add_f32 v[6:7], v[40:41], v[50:51] neg_lo:[0,1] neg_hi:[0,1]
	v_pk_add_f32 v[32:33], v[54:55], v[52:53] neg_lo:[0,1] neg_hi:[0,1]
	;; [unrolled: 1-line block ×3, first 2 shown]
	v_pk_fma_f32 v[22:23], v[30:31], 2.0, v[20:21] op_sel_hi:[1,0,1] neg_lo:[0,0,1] neg_hi:[0,0,1]
	v_lshl_add_u32 v58, v2, 4, 0
	v_lshl_add_u32 v59, v3, 4, 0
	;; [unrolled: 1-line block ×3, first 2 shown]
	v_pk_fma_f32 v[4:5], v[38:39], 2.0, v[28:29] op_sel_hi:[1,0,1] neg_lo:[0,0,1] neg_hi:[0,0,1]
	v_lshl_add_u32 v9, v46, 4, 0
	v_pk_fma_f32 v[30:31], v[40:41], 2.0, v[6:7] op_sel_hi:[1,0,1] neg_lo:[0,0,1] neg_hi:[0,0,1]
	v_lshl_add_u32 v38, v48, 4, 0
	;; [unrolled: 2-line block ×3, first 2 shown]
	v_pk_fma_f32 v[36:37], v[56:57], 2.0, v[14:15] op_sel_hi:[1,0,1] neg_lo:[0,0,1] neg_hi:[0,0,1]
	ds_write2_b64 v47, v[18:19], v[10:11] offset1:1
	ds_write2_b64 v58, v[22:23], v[20:21] offset1:1
	;; [unrolled: 1-line block ×7, first 2 shown]
	s_and_saveexec_b64 s[6:7], s[2:3]
	s_cbranch_execz .LBB0_21
; %bb.20:
	v_lshl_add_u32 v4, v44, 4, 0
	ds_write2_b64 v4, v[42:43], v[16:17] offset1:1
.LBB0_21:
	s_or_b64 exec, exec, s[6:7]
	v_lshlrev_b32_e32 v82, 1, v1
	v_lshlrev_b32_e32 v80, 1, v2
	;; [unrolled: 1-line block ×3, first 2 shown]
	s_waitcnt lgkmcnt(0)
	; wave barrier
	s_waitcnt lgkmcnt(0)
	ds_read2_b64 v[30:33], v114 offset1:52
	ds_read2_b64 v[4:7], v0 offset0:34 offset1:86
	ds_read2_b64 v[34:37], v114 offset0:104 offset1:156
	;; [unrolled: 1-line block ×4, first 2 shown]
	v_add_u32_e32 v8, 0x1400, v114
	ds_read2_b64 v[26:29], v8 offset0:114 offset1:166
	ds_read2_b64 v[22:25], v13 offset0:56 offset1:108
	;; [unrolled: 1-line block ×5, first 2 shown]
	v_lshlrev_b32_e32 v88, 1, v77
	v_lshlrev_b32_e32 v84, 1, v75
	;; [unrolled: 1-line block ×6, first 2 shown]
	s_and_saveexec_b64 s[6:7], s[2:3]
	s_cbranch_execz .LBB0_23
; %bb.22:
	ds_read_b64 v[42:43], v114 offset:4160
	ds_read_b64 v[16:17], v114 offset:8528
.LBB0_23:
	s_or_b64 exec, exec, s[6:7]
	v_and_b32_e32 v48, 1, v74
	v_lshlrev_b32_e32 v49, 3, v48
	global_load_dwordx2 v[50:51], v49, s[4:5]
	s_movk_i32 s7, 0xfc
	s_movk_i32 s8, 0x1fc
	;; [unrolled: 1-line block ×4, first 2 shown]
	s_waitcnt lgkmcnt(0)
	v_mov_b32_e32 v52, v17
	v_and_or_b32 v53, v88, s7, v48
	v_and_or_b32 v54, v84, s8, v48
	;; [unrolled: 1-line block ×5, first 2 shown]
	v_lshl_add_u32 v79, v53, 3, 0
	v_lshl_add_u32 v81, v54, 3, 0
	;; [unrolled: 1-line block ×5, first 2 shown]
	s_movk_i32 s6, 0x7c
	v_lshlrev_b32_e32 v76, 1, v74
	v_and_or_b32 v49, v76, s6, v48
	v_lshl_add_u32 v49, v49, 3, 0
	s_waitcnt lgkmcnt(0)
	; wave barrier
	s_movk_i32 s6, 0x7fc
	s_waitcnt vmcnt(0)
	v_pk_mul_f32 v[54:55], v[50:51], v[4:5] op_sel:[0,1]
	v_pk_mul_f32 v[56:57], v[50:51], v[6:7] op_sel:[0,1]
	;; [unrolled: 1-line block ×8, first 2 shown]
	v_pk_mul_f32 v[52:53], v[52:53], v[50:51] op_sel_hi:[0,1]
	v_pk_mul_f32 v[70:71], v[50:51], v[26:27] op_sel:[0,1]
	v_pk_fma_f32 v[90:91], v[50:51], v[4:5], v[54:55] op_sel:[0,0,1] op_sel_hi:[1,1,0]
	v_pk_fma_f32 v[4:5], v[50:51], v[4:5], v[54:55] op_sel:[0,0,1] op_sel_hi:[1,0,0] neg_lo:[1,0,0] neg_hi:[1,0,0]
	v_pk_fma_f32 v[54:55], v[50:51], v[6:7], v[56:57] op_sel:[0,0,1] op_sel_hi:[1,1,0]
	v_pk_fma_f32 v[6:7], v[50:51], v[6:7], v[56:57] op_sel:[0,0,1] op_sel_hi:[1,0,0] neg_lo:[1,0,0] neg_hi:[1,0,0]
	;; [unrolled: 2-line block ×4, first 2 shown]
	v_pk_fma_f32 v[60:61], v[50:51], v[10:11], v[62:63] op_sel:[0,0,1] op_sel_hi:[1,0,0] neg_lo:[1,0,0] neg_hi:[1,0,0]
	v_pk_fma_f32 v[10:11], v[50:51], v[10:11], v[62:63] op_sel:[0,0,1] op_sel_hi:[1,0,0]
	v_pk_fma_f32 v[62:63], v[50:51], v[12:13], v[64:65] op_sel:[0,0,1] op_sel_hi:[1,0,0] neg_lo:[1,0,0] neg_hi:[1,0,0]
	v_pk_fma_f32 v[12:13], v[50:51], v[12:13], v[64:65] op_sel:[0,0,1] op_sel_hi:[1,0,0]
	v_pk_fma_f32 v[64:65], v[50:51], v[14:15], v[66:67] op_sel:[0,0,1] op_sel_hi:[1,0,0] neg_lo:[1,0,0] neg_hi:[1,0,0]
	v_pk_fma_f32 v[14:15], v[50:51], v[14:15], v[66:67] op_sel:[0,0,1] op_sel_hi:[1,0,0]
	v_pk_fma_f32 v[66:67], v[50:51], v[2:3], v[68:69] op_sel:[0,0,1] op_sel_hi:[1,1,0]
	v_pk_fma_f32 v[2:3], v[50:51], v[2:3], v[68:69] op_sel:[0,0,1] op_sel_hi:[1,0,0] neg_lo:[1,0,0] neg_hi:[1,0,0]
	v_pk_fma_f32 v[68:69], v[16:17], v[50:51], v[52:53] op_sel:[0,0,1] op_sel_hi:[0,1,0] neg_lo:[1,0,0] neg_hi:[1,0,0]
	v_pk_fma_f32 v[16:17], v[16:17], v[50:51], v[52:53] op_sel:[0,0,1] op_sel_hi:[0,1,0]
	v_pk_fma_f32 v[52:53], v[50:51], v[26:27], v[70:71] op_sel:[0,0,1] op_sel_hi:[1,1,0]
	v_pk_fma_f32 v[26:27], v[50:51], v[26:27], v[70:71] op_sel:[0,0,1] op_sel_hi:[1,0,0] neg_lo:[1,0,0] neg_hi:[1,0,0]
	v_mov_b32_e32 v91, v5
	v_mov_b32_e32 v53, v27
	;; [unrolled: 1-line block ×5, first 2 shown]
	v_pk_add_f32 v[26:27], v[30:31], v[90:91] neg_lo:[0,1] neg_hi:[0,1]
	v_pk_add_f32 v[52:53], v[18:19], v[52:53] neg_lo:[0,1] neg_hi:[0,1]
	v_mov_b32_e32 v11, v61
	v_pk_add_f32 v[54:55], v[32:33], v[54:55] neg_lo:[0,1] neg_hi:[0,1]
	v_pk_add_f32 v[56:57], v[34:35], v[56:57] neg_lo:[0,1] neg_hi:[0,1]
	;; [unrolled: 1-line block ×3, first 2 shown]
	v_pk_fma_f32 v[30:31], v[30:31], 2.0, v[26:27] op_sel_hi:[1,0,1] neg_lo:[0,0,1] neg_hi:[0,0,1]
	v_pk_fma_f32 v[18:19], v[18:19], 2.0, v[52:53] op_sel_hi:[1,0,1] neg_lo:[0,0,1] neg_hi:[0,0,1]
	v_pk_add_f32 v[4:5], v[24:25], v[10:11] neg_lo:[0,1] neg_hi:[0,1]
	v_pk_fma_f32 v[32:33], v[32:33], 2.0, v[54:55] op_sel_hi:[1,0,1] neg_lo:[0,0,1] neg_hi:[0,0,1]
	v_pk_fma_f32 v[34:35], v[34:35], 2.0, v[56:57] op_sel_hi:[1,0,1] neg_lo:[0,0,1] neg_hi:[0,0,1]
	;; [unrolled: 1-line block ×3, first 2 shown]
	ds_write2_b64 v49, v[30:31], v[26:27] offset1:2
	ds_write2_b64 v79, v[32:33], v[54:55] offset1:2
	;; [unrolled: 1-line block ×5, first 2 shown]
	v_pk_mul_f32 v[18:19], v[50:51], v[28:29] op_sel:[0,1]
	v_pk_fma_f32 v[2:3], v[24:25], 2.0, v[4:5] op_sel_hi:[1,0,1] neg_lo:[0,0,1] neg_hi:[0,0,1]
	v_pk_fma_f32 v[24:25], v[50:51], v[28:29], v[18:19] op_sel:[0,0,1] op_sel_hi:[1,1,0]
	v_pk_fma_f32 v[18:19], v[50:51], v[28:29], v[18:19] op_sel:[0,0,1] op_sel_hi:[1,0,0] neg_lo:[1,0,0] neg_hi:[1,0,0]
	v_mov_b32_e32 v59, v9
	v_mov_b32_e32 v25, v19
	v_pk_add_f32 v[18:19], v[20:21], v[24:25] neg_lo:[0,1] neg_hi:[0,1]
	v_pk_add_f32 v[0:1], v[22:23], v[58:59] neg_lo:[0,1] neg_hi:[0,1]
	v_pk_fma_f32 v[20:21], v[20:21], 2.0, v[18:19] op_sel_hi:[1,0,1] neg_lo:[0,0,1] neg_hi:[0,0,1]
	ds_write2_b64 v87, v[20:21], v[18:19] offset1:2
	v_and_or_b32 v18, v86, s10, v48
	v_lshl_add_u32 v20, v18, 3, 0
	v_pk_fma_f32 v[18:19], v[22:23], 2.0, v[0:1] op_sel_hi:[1,0,1] neg_lo:[0,0,1] neg_hi:[0,0,1]
	ds_write2_b64 v20, v[18:19], v[0:1] offset1:2
	v_and_or_b32 v18, v47, s9, v48
	v_mov_b32_e32 v13, v63
	v_lshl_add_u32 v18, v18, 3, 0
	v_pk_add_f32 v[12:13], v[38:39], v[12:13] neg_lo:[0,1] neg_hi:[0,1]
	ds_write2_b64 v18, v[2:3], v[4:5] offset1:2
	v_and_or_b32 v18, v46, s9, v48
	v_mov_b32_e32 v15, v65
	v_mov_b32_e32 v17, v69
	v_pk_fma_f32 v[6:7], v[38:39], 2.0, v[12:13] op_sel_hi:[1,0,1] neg_lo:[0,0,1] neg_hi:[0,0,1]
	v_lshl_add_u32 v18, v18, 3, 0
	v_pk_add_f32 v[8:9], v[40:41], v[14:15] neg_lo:[0,1] neg_hi:[0,1]
	v_pk_add_f32 v[16:17], v[42:43], v[16:17] neg_lo:[0,1] neg_hi:[0,1]
	ds_write2_b64 v18, v[6:7], v[12:13] offset1:2
	v_and_or_b32 v18, v45, s6, v48
	v_pk_fma_f32 v[14:15], v[40:41], 2.0, v[8:9] op_sel_hi:[1,0,1] neg_lo:[0,0,1] neg_hi:[0,0,1]
	v_pk_fma_f32 v[10:11], v[42:43], 2.0, v[16:17] op_sel_hi:[1,0,1] neg_lo:[0,0,1] neg_hi:[0,0,1]
	v_lshl_add_u32 v18, v18, 3, 0
	ds_write2_b64 v18, v[14:15], v[8:9] offset1:2
	s_and_saveexec_b64 s[6:7], s[2:3]
	s_cbranch_execz .LBB0_25
; %bb.24:
	v_lshlrev_b32_e32 v18, 1, v44
	s_movk_i32 s2, 0x47c
	v_and_or_b32 v18, v18, s2, v48
	v_lshl_add_u32 v18, v18, 3, 0
	ds_write2_b64 v18, v[10:11], v[16:17] offset1:2
.LBB0_25:
	s_or_b64 exec, exec, s[6:7]
	v_add_u32_e32 v19, 0xc00, v114
	s_waitcnt lgkmcnt(0)
	; wave barrier
	s_waitcnt lgkmcnt(0)
	ds_read2_b64 v[24:27], v114 offset1:84
	ds_read2_b64 v[56:59], v114 offset0:168 offset1:252
	v_add_u32_e32 v18, 0x800, v114
	ds_read2_b64 v[64:67], v19 offset0:120 offset1:204
	v_add_u32_e32 v19, 0x1000, v114
	v_add_u32_e32 v20, 0x1800, v114
	ds_read2_b64 v[60:63], v18 offset0:80 offset1:164
	ds_read2_b64 v[68:71], v19 offset0:160 offset1:244
	;; [unrolled: 1-line block ×3, first 2 shown]
	ds_read_b64 v[92:93], v114 offset:8064
	v_cmp_gt_u32_e32 vcc, 32, v74
                                        ; implicit-def: $vgpr90
                                        ; implicit-def: $vgpr22
	s_and_saveexec_b64 s[2:3], vcc
	s_cbranch_execz .LBB0_27
; %bb.26:
	v_add_u32_e32 v4, 0x400, v114
	v_add_u32_e32 v16, 0x1400, v114
	ds_read2_b64 v[0:3], v114 offset0:52 offset1:136
	ds_read2_b64 v[4:7], v4 offset0:92 offset1:176
	;; [unrolled: 1-line block ×6, first 2 shown]
	ds_read_b64 v[90:91], v114 offset:8480
.LBB0_27:
	s_or_b64 exec, exec, s[2:3]
	v_and_b32_e32 v79, 3, v74
	v_mul_u32_u24_e32 v28, 12, v79
	v_lshlrev_b32_e32 v81, 3, v28
	global_load_dwordx4 v[32:35], v81, s[4:5] offset:16
	global_load_dwordx4 v[28:31], v81, s[4:5] offset:32
	;; [unrolled: 1-line block ×6, first 2 shown]
	s_mov_b32 s26, 0xbeedf032
	s_mov_b32 s2, 0x3f62ad3f
	;; [unrolled: 1-line block ×12, first 2 shown]
	s_waitcnt lgkmcnt(0)
	; wave barrier
	s_waitcnt lgkmcnt(0)
	s_mov_b32 s34, 0x3f29c268
	s_mov_b32 s28, 0x3f7e222b
	;; [unrolled: 1-line block ×6, first 2 shown]
	s_waitcnt vmcnt(5)
	v_pk_mul_f32 v[94:95], v[34:35], v[56:57] op_sel:[0,1]
	s_waitcnt vmcnt(4)
	v_pk_mul_f32 v[96:97], v[28:29], v[58:59] op_sel:[0,1]
	v_pk_mul_f32 v[98:99], v[30:31], v[60:61] op_sel:[0,1]
	s_waitcnt vmcnt(3)
	v_pk_mul_f32 v[100:101], v[36:37], v[62:63] op_sel:[0,1]
	;; [unrolled: 3-line block ×4, first 2 shown]
	v_pk_mul_f32 v[110:111], v[32:33], v[26:27] op_sel:[0,1]
	v_mov_b32_e32 v112, v47
	s_waitcnt vmcnt(0)
	v_pk_mul_f32 v[116:117], v[54:55], v[48:49] op_sel:[0,1]
	v_mov_b32_e32 v118, v51
	v_pk_fma_f32 v[120:121], v[34:35], v[56:57], v[94:95] op_sel:[0,0,1] op_sel_hi:[1,1,0]
	v_pk_fma_f32 v[56:57], v[34:35], v[56:57], v[94:95] op_sel:[0,0,1] op_sel_hi:[1,0,0] neg_lo:[1,0,0] neg_hi:[1,0,0]
	v_pk_fma_f32 v[94:95], v[28:29], v[58:59], v[96:97] op_sel:[0,0,1] op_sel_hi:[1,1,0]
	v_pk_fma_f32 v[58:59], v[28:29], v[58:59], v[96:97] op_sel:[0,0,1] op_sel_hi:[1,0,0] neg_lo:[1,0,0] neg_hi:[1,0,0]
	;; [unrolled: 2-line block ×9, first 2 shown]
	v_pk_mul_f32 v[110:111], v[52:53], v[112:113] op_sel_hi:[1,0]
	v_pk_fma_f32 v[112:113], v[54:55], v[48:49], v[116:117] op_sel:[0,0,1] op_sel_hi:[1,1,0]
	v_pk_fma_f32 v[54:55], v[54:55], v[48:49], v[116:117] op_sel:[0,0,1] op_sel_hi:[1,0,0] neg_lo:[0,0,1] neg_hi:[0,0,1]
	v_pk_mul_f32 v[116:117], v[92:93], v[118:119] op_sel_hi:[1,0]
	v_mov_b32_e32 v109, v27
	v_mov_b32_e32 v99, v63
	;; [unrolled: 1-line block ×3, first 2 shown]
	v_pk_fma_f32 v[62:63], v[52:53], v[46:47], v[110:111] op_sel:[0,0,1] op_sel_hi:[1,1,0]
	v_pk_fma_f32 v[26:27], v[52:53], v[46:47], v[110:111] op_sel:[0,0,1] op_sel_hi:[1,0,0] neg_lo:[0,0,1] neg_hi:[0,0,1]
	v_pk_fma_f32 v[64:65], v[92:93], v[50:51], v[116:117] op_sel:[0,0,1] op_sel_hi:[1,1,0]
	v_pk_fma_f32 v[52:53], v[92:93], v[50:51], v[116:117] op_sel:[0,0,1] op_sel_hi:[1,0,0] neg_lo:[0,0,1] neg_hi:[0,0,1]
	v_mov_b32_e32 v121, v57
	v_mov_b32_e32 v63, v27
	;; [unrolled: 1-line block ×3, first 2 shown]
	v_pk_add_f32 v[26:27], v[108:109], v[24:25]
	v_mov_b32_e32 v95, v59
	v_mov_b32_e32 v113, v55
	v_pk_add_f32 v[54:55], v[26:27], v[120:121]
	v_pk_add_f32 v[122:123], v[108:109], v[64:65] neg_lo:[0,1] neg_hi:[0,1]
	v_mov_b32_e32 v97, v61
	v_pk_add_f32 v[116:117], v[120:121], v[112:113]
	v_pk_add_f32 v[118:119], v[120:121], v[112:113] neg_lo:[0,1] neg_hi:[0,1]
	v_pk_add_f32 v[120:121], v[108:109], v[64:65]
	v_pk_add_f32 v[126:127], v[94:95], v[62:63] neg_lo:[0,1] neg_hi:[0,1]
	v_pk_mul_f32 v[56:57], v[122:123], s[26:27] op_sel:[1,0] op_sel_hi:[0,0]
	v_pk_add_f32 v[54:55], v[54:55], v[94:95]
	v_mov_b32_e32 v103, v67
	v_mov_b32_e32 v107, v71
	v_pk_mul_f32 v[52:53], v[118:119], s[10:11] op_sel:[1,0] op_sel_hi:[0,0]
	v_pk_add_f32 v[124:125], v[94:95], v[62:63]
	v_pk_mul_f32 v[66:67], v[126:127], s[12:13] op_sel:[1,0] op_sel_hi:[0,0]
	v_pk_fma_f32 v[58:59], v[120:121], s[2:3], v[56:57] op_sel_hi:[1,0,1]
	v_pk_fma_f32 v[60:61], v[120:121], s[2:3], v[56:57] op_sel_hi:[1,0,1] neg_lo:[0,0,1] neg_hi:[0,0,1]
	v_pk_add_f32 v[70:71], v[54:55], v[96:97]
	v_pk_fma_f32 v[26:27], v[116:117], s[6:7], v[52:53] op_sel_hi:[1,0,1]
	v_pk_fma_f32 v[52:53], v[116:117], s[6:7], v[52:53] op_sel_hi:[1,0,1] neg_lo:[0,0,1] neg_hi:[0,0,1]
	v_pk_fma_f32 v[54:55], v[124:125], s[8:9], v[66:67] op_sel_hi:[1,0,1]
	v_pk_fma_f32 v[56:57], v[124:125], s[8:9], v[66:67] op_sel_hi:[1,0,1] neg_lo:[0,0,1] neg_hi:[0,0,1]
	v_mov_b32_e32 v66, v58
	v_mov_b32_e32 v67, v61
	v_pk_add_f32 v[70:71], v[70:71], v[98:99]
	v_mov_b32_e32 v105, v69
	v_mov_b32_e32 v68, v26
	;; [unrolled: 1-line block ×3, first 2 shown]
	v_pk_add_f32 v[66:67], v[66:67], v[24:25]
	v_pk_add_f32 v[70:71], v[70:71], v[100:101]
	;; [unrolled: 1-line block ×4, first 2 shown]
	v_pk_add_f32 v[130:131], v[96:97], v[106:107] neg_lo:[0,1] neg_hi:[0,1]
	v_pk_add_f32 v[68:69], v[68:69], v[104:105]
	v_pk_add_f32 v[128:129], v[96:97], v[106:107]
	v_pk_add_f32 v[68:69], v[68:69], v[106:107]
	v_pk_add_f32 v[134:135], v[98:99], v[104:105] neg_lo:[0,1] neg_hi:[0,1]
	v_pk_add_f32 v[62:63], v[68:69], v[62:63]
	v_pk_add_f32 v[132:133], v[98:99], v[104:105]
	;; [unrolled: 1-line block ×3, first 2 shown]
	v_pk_add_f32 v[138:139], v[100:101], v[102:103] neg_lo:[0,1] neg_hi:[0,1]
	v_pk_add_f32 v[94:95], v[62:63], v[64:65]
	v_mov_b32_e32 v62, v54
	v_mov_b32_e32 v63, v57
	v_pk_mul_f32 v[64:65], v[130:131], s[18:19] op_sel:[1,0] op_sel_hi:[0,0]
	v_pk_add_f32 v[66:67], v[62:63], v[66:67]
	v_pk_fma_f32 v[62:63], v[128:129], s[14:15], v[64:65] op_sel_hi:[1,0,1]
	v_pk_fma_f32 v[64:65], v[128:129], s[14:15], v[64:65] op_sel_hi:[1,0,1] neg_lo:[0,0,1] neg_hi:[0,0,1]
	v_mov_b32_e32 v68, v62
	v_mov_b32_e32 v69, v65
	v_pk_add_f32 v[70:71], v[68:69], v[66:67]
	v_pk_mul_f32 v[68:69], v[134:135], s[20:21] op_sel:[1,0] op_sel_hi:[0,0]
	v_pk_fma_f32 v[66:67], v[132:133], s[16:17], v[68:69] op_sel_hi:[1,0,1]
	v_pk_fma_f32 v[68:69], v[132:133], s[16:17], v[68:69] op_sel_hi:[1,0,1] neg_lo:[0,0,1] neg_hi:[0,0,1]
	v_mov_b32_e32 v92, v66
	v_mov_b32_e32 v93, v69
	v_pk_add_f32 v[96:97], v[92:93], v[70:71]
	v_pk_add_f32 v[136:137], v[100:101], v[102:103]
	v_pk_mul_f32 v[92:93], v[138:139], s[24:25] op_sel:[1,0] op_sel_hi:[0,0]
	v_lshrrev_b32_e32 v26, 2, v74
	v_pk_fma_f32 v[70:71], v[136:137], s[22:23], v[92:93] op_sel_hi:[1,0,1]
	v_pk_fma_f32 v[92:93], v[136:137], s[22:23], v[92:93] op_sel_hi:[1,0,1] neg_lo:[0,0,1] neg_hi:[0,0,1]
	v_mul_u32_u24_e32 v26, 52, v26
	v_mov_b32_e32 v98, v70
	v_mov_b32_e32 v99, v93
	v_or_b32_e32 v26, v26, v79
	v_pk_add_f32 v[96:97], v[98:99], v[96:97]
	v_lshl_add_u32 v26, v26, 3, 0
	ds_write2_b64 v26, v[94:95], v[96:97] offset1:4
	v_pk_mul_f32 v[94:95], v[122:123], s[10:11] op_sel:[1,0] op_sel_hi:[0,0]
	v_pk_fma_f32 v[96:97], v[120:121], s[6:7], v[94:95] op_sel_hi:[1,0,1]
	v_pk_fma_f32 v[94:95], v[120:121], s[6:7], v[94:95] op_sel_hi:[1,0,1] neg_lo:[0,0,1] neg_hi:[0,0,1]
	v_mov_b32_e32 v98, v96
	v_mov_b32_e32 v99, v95
	v_pk_add_f32 v[102:103], v[98:99], v[24:25]
	v_pk_mul_f32 v[98:99], v[118:119], s[18:19] op_sel:[1,0] op_sel_hi:[0,0]
	v_pk_fma_f32 v[100:101], v[116:117], s[14:15], v[98:99] op_sel_hi:[1,0,1]
	v_pk_fma_f32 v[98:99], v[116:117], s[14:15], v[98:99] op_sel_hi:[1,0,1] neg_lo:[0,0,1] neg_hi:[0,0,1]
	v_mov_b32_e32 v104, v100
	v_mov_b32_e32 v105, v99
	v_pk_add_f32 v[106:107], v[104:105], v[102:103]
	;; [unrolled: 6-line block ×6, first 2 shown]
	v_pk_mul_f32 v[146:147], v[122:123], s[12:13] op_sel:[1,0] op_sel_hi:[0,0]
	v_pk_fma_f32 v[148:149], v[120:121], s[8:9], v[146:147] op_sel_hi:[1,0,1]
	v_pk_fma_f32 v[146:147], v[120:121], s[8:9], v[146:147] op_sel_hi:[1,0,1] neg_lo:[0,0,1] neg_hi:[0,0,1]
	v_pk_mul_f32 v[152:153], v[118:119], s[24:25] op_sel:[1,0] op_sel_hi:[0,0]
	v_mov_b32_e32 v150, v148
	v_mov_b32_e32 v151, v147
	v_pk_fma_f32 v[154:155], v[116:117], s[22:23], v[152:153] op_sel_hi:[1,0,1]
	v_pk_fma_f32 v[152:153], v[116:117], s[22:23], v[152:153] op_sel_hi:[1,0,1] neg_lo:[0,0,1] neg_hi:[0,0,1]
	v_pk_add_f32 v[150:151], v[150:151], v[24:25]
	v_mov_b32_e32 v156, v154
	v_mov_b32_e32 v157, v153
	v_pk_add_f32 v[150:151], v[156:157], v[150:151]
	v_pk_mul_f32 v[156:157], v[126:127], s[40:41] op_sel:[1,0] op_sel_hi:[0,0]
	v_pk_fma_f32 v[158:159], v[124:125], s[14:15], v[156:157] op_sel_hi:[1,0,1]
	v_pk_fma_f32 v[156:157], v[124:125], s[14:15], v[156:157] op_sel_hi:[1,0,1] neg_lo:[0,0,1] neg_hi:[0,0,1]
	v_mov_b32_e32 v160, v158
	v_mov_b32_e32 v161, v157
	v_pk_add_f32 v[150:151], v[160:161], v[150:151]
	v_pk_mul_f32 v[160:161], v[130:131], s[30:31] op_sel:[1,0] op_sel_hi:[0,0]
	v_pk_fma_f32 v[162:163], v[128:129], s[2:3], v[160:161] op_sel_hi:[1,0,1]
	v_pk_fma_f32 v[160:161], v[128:129], s[2:3], v[160:161] op_sel_hi:[1,0,1] neg_lo:[0,0,1] neg_hi:[0,0,1]
	;; [unrolled: 6-line block ×4, first 2 shown]
	v_mov_b32_e32 v172, v170
	v_mov_b32_e32 v173, v169
	v_pk_add_f32 v[150:151], v[172:173], v[150:151]
	ds_write2_b64 v26, v[140:141], v[150:151] offset0:8 offset1:12
	v_pk_mul_f32 v[140:141], v[122:123], s[18:19] op_sel:[1,0] op_sel_hi:[0,0]
	v_pk_fma_f32 v[150:151], v[120:121], s[14:15], v[140:141] op_sel_hi:[1,0,1]
	v_pk_fma_f32 v[140:141], v[120:121], s[14:15], v[140:141] op_sel_hi:[1,0,1] neg_lo:[0,0,1] neg_hi:[0,0,1]
	v_pk_mul_f32 v[174:175], v[118:119], s[34:35] op_sel:[1,0] op_sel_hi:[0,0]
	v_mov_b32_e32 v172, v150
	v_mov_b32_e32 v173, v141
	v_pk_fma_f32 v[176:177], v[116:117], s[16:17], v[174:175] op_sel_hi:[1,0,1]
	v_pk_fma_f32 v[174:175], v[116:117], s[16:17], v[174:175] op_sel_hi:[1,0,1] neg_lo:[0,0,1] neg_hi:[0,0,1]
	v_pk_add_f32 v[172:173], v[172:173], v[24:25]
	v_mov_b32_e32 v178, v176
	v_mov_b32_e32 v179, v175
	v_pk_add_f32 v[172:173], v[178:179], v[172:173]
	v_pk_mul_f32 v[178:179], v[126:127], s[30:31] op_sel:[1,0] op_sel_hi:[0,0]
	v_pk_fma_f32 v[180:181], v[124:125], s[2:3], v[178:179] op_sel_hi:[1,0,1]
	v_pk_fma_f32 v[178:179], v[124:125], s[2:3], v[178:179] op_sel_hi:[1,0,1] neg_lo:[0,0,1] neg_hi:[0,0,1]
	v_mov_b32_e32 v182, v180
	v_mov_b32_e32 v183, v179
	v_pk_add_f32 v[172:173], v[182:183], v[172:173]
	v_pk_mul_f32 v[182:183], v[130:131], s[12:13] op_sel:[1,0] op_sel_hi:[0,0]
	v_pk_fma_f32 v[184:185], v[128:129], s[8:9], v[182:183] op_sel_hi:[1,0,1]
	v_pk_fma_f32 v[182:183], v[128:129], s[8:9], v[182:183] op_sel_hi:[1,0,1] neg_lo:[0,0,1] neg_hi:[0,0,1]
	;; [unrolled: 6-line block ×5, first 2 shown]
	v_pk_mul_f32 v[200:201], v[118:119], s[28:29] op_sel:[1,0] op_sel_hi:[0,0]
	v_mov_b32_e32 v198, v196
	v_mov_b32_e32 v199, v195
	v_pk_fma_f32 v[202:203], v[116:117], s[8:9], v[200:201] op_sel_hi:[1,0,1]
	v_pk_fma_f32 v[200:201], v[116:117], s[8:9], v[200:201] op_sel_hi:[1,0,1] neg_lo:[0,0,1] neg_hi:[0,0,1]
	v_pk_add_f32 v[198:199], v[198:199], v[24:25]
	v_mov_b32_e32 v204, v202
	v_mov_b32_e32 v205, v201
	v_pk_add_f32 v[198:199], v[204:205], v[198:199]
	v_pk_mul_f32 v[204:205], v[126:127], s[10:11] op_sel:[1,0] op_sel_hi:[0,0]
	v_pk_fma_f32 v[206:207], v[124:125], s[6:7], v[204:205] op_sel_hi:[1,0,1]
	v_pk_fma_f32 v[204:205], v[124:125], s[6:7], v[204:205] op_sel_hi:[1,0,1] neg_lo:[0,0,1] neg_hi:[0,0,1]
	v_mov_b32_e32 v208, v206
	v_mov_b32_e32 v209, v205
	v_pk_add_f32 v[198:199], v[208:209], v[198:199]
	v_pk_mul_f32 v[208:209], v[130:131], s[38:39] op_sel:[1,0] op_sel_hi:[0,0]
	v_pk_fma_f32 v[210:211], v[128:129], s[22:23], v[208:209] op_sel_hi:[1,0,1]
	v_pk_fma_f32 v[208:209], v[128:129], s[22:23], v[208:209] op_sel_hi:[1,0,1] neg_lo:[0,0,1] neg_hi:[0,0,1]
	v_mov_b32_e32 v212, v210
	v_mov_b32_e32 v213, v209
	v_pk_add_f32 v[198:199], v[212:213], v[198:199]
	v_pk_mul_f32 v[212:213], v[134:135], s[30:31] op_sel:[1,0] op_sel_hi:[0,0]
	v_pk_fma_f32 v[214:215], v[132:133], s[2:3], v[212:213] op_sel_hi:[1,0,1]
	v_pk_fma_f32 v[212:213], v[132:133], s[2:3], v[212:213] op_sel_hi:[1,0,1] neg_lo:[0,0,1] neg_hi:[0,0,1]
	v_mov_b32_e32 v216, v214
	v_mov_b32_e32 v217, v213
	v_pk_add_f32 v[198:199], v[216:217], v[198:199]
	v_pk_mul_f32 v[216:217], v[138:139], s[18:19] op_sel:[1,0] op_sel_hi:[0,0]
	v_pk_fma_f32 v[218:219], v[136:137], s[14:15], v[216:217] op_sel_hi:[1,0,1]
	v_pk_fma_f32 v[216:217], v[136:137], s[14:15], v[216:217] op_sel_hi:[1,0,1] neg_lo:[0,0,1] neg_hi:[0,0,1]
	v_mov_b32_e32 v220, v218
	v_mov_b32_e32 v221, v217
	v_pk_add_f32 v[198:199], v[220:221], v[198:199]
	v_pk_mul_f32 v[122:123], v[122:123], s[24:25] op_sel:[1,0] op_sel_hi:[0,0]
	ds_write2_b64 v26, v[172:173], v[198:199] offset0:16 offset1:20
	v_pk_fma_f32 v[172:173], v[120:121], s[22:23], v[122:123] op_sel_hi:[1,0,1]
	v_pk_fma_f32 v[120:121], v[120:121], s[22:23], v[122:123] op_sel_hi:[1,0,1] neg_lo:[0,0,1] neg_hi:[0,0,1]
	v_pk_mul_f32 v[118:119], v[118:119], s[30:31] op_sel:[1,0] op_sel_hi:[0,0]
	v_pk_fma_f32 v[122:123], v[116:117], s[2:3], v[118:119] op_sel_hi:[1,0,1]
	v_pk_fma_f32 v[116:117], v[116:117], s[2:3], v[118:119] op_sel_hi:[1,0,1] neg_lo:[0,0,1] neg_hi:[0,0,1]
	v_mov_b32_e32 v118, v172
	v_mov_b32_e32 v119, v121
	v_pk_add_f32 v[118:119], v[118:119], v[24:25]
	v_mov_b32_e32 v198, v122
	v_mov_b32_e32 v199, v117
	v_pk_mul_f32 v[126:127], v[126:127], s[20:21] op_sel:[1,0] op_sel_hi:[0,0]
	v_pk_add_f32 v[118:119], v[198:199], v[118:119]
	v_pk_fma_f32 v[198:199], v[124:125], s[16:17], v[126:127] op_sel_hi:[1,0,1]
	v_pk_fma_f32 v[124:125], v[124:125], s[16:17], v[126:127] op_sel_hi:[1,0,1] neg_lo:[0,0,1] neg_hi:[0,0,1]
	v_mov_b32_e32 v126, v198
	v_mov_b32_e32 v127, v125
	v_pk_add_f32 v[118:119], v[126:127], v[118:119]
	v_pk_mul_f32 v[126:127], v[130:131], s[36:37] op_sel:[1,0] op_sel_hi:[0,0]
	v_pk_fma_f32 v[130:131], v[128:129], s[6:7], v[126:127] op_sel_hi:[1,0,1]
	v_pk_fma_f32 v[126:127], v[128:129], s[6:7], v[126:127] op_sel_hi:[1,0,1] neg_lo:[0,0,1] neg_hi:[0,0,1]
	v_mov_b32_e32 v128, v130
	v_mov_b32_e32 v129, v127
	v_pk_add_f32 v[118:119], v[128:129], v[118:119]
	v_pk_mul_f32 v[128:129], v[134:135], s[18:19] op_sel:[1,0] op_sel_hi:[0,0]
	v_mov_b32_e32 v121, v173
	v_pk_fma_f32 v[134:135], v[132:133], s[14:15], v[128:129] op_sel_hi:[1,0,1]
	v_pk_fma_f32 v[128:129], v[132:133], s[14:15], v[128:129] op_sel_hi:[1,0,1] neg_lo:[0,0,1] neg_hi:[0,0,1]
	v_mov_b32_e32 v117, v123
	v_pk_add_f32 v[120:121], v[120:121], v[24:25]
	v_mov_b32_e32 v132, v134
	v_mov_b32_e32 v133, v129
	v_pk_add_f32 v[116:117], v[116:117], v[120:121]
	v_mov_b32_e32 v125, v199
	v_pk_add_f32 v[118:119], v[132:133], v[118:119]
	v_pk_mul_f32 v[132:133], v[138:139], s[28:29] op_sel:[1,0] op_sel_hi:[0,0]
	v_pk_add_f32 v[116:117], v[124:125], v[116:117]
	v_mov_b32_e32 v127, v131
	v_pk_fma_f32 v[138:139], v[136:137], s[8:9], v[132:133] op_sel_hi:[1,0,1]
	v_pk_fma_f32 v[132:133], v[136:137], s[8:9], v[132:133] op_sel_hi:[1,0,1] neg_lo:[0,0,1] neg_hi:[0,0,1]
	v_pk_add_f32 v[116:117], v[126:127], v[116:117]
	v_mov_b32_e32 v129, v135
	v_mov_b32_e32 v136, v138
	;; [unrolled: 1-line block ×3, first 2 shown]
	v_pk_add_f32 v[116:117], v[128:129], v[116:117]
	v_mov_b32_e32 v133, v139
	v_pk_add_f32 v[118:119], v[136:137], v[118:119]
	v_pk_add_f32 v[116:117], v[132:133], v[116:117]
	v_mov_b32_e32 v195, v197
	v_mov_b32_e32 v141, v151
	ds_write2_b64 v26, v[118:119], v[116:117] offset0:24 offset1:28
	v_mov_b32_e32 v201, v203
	v_pk_add_f32 v[116:117], v[194:195], v[24:25]
	v_mov_b32_e32 v175, v177
	v_pk_add_f32 v[118:119], v[140:141], v[24:25]
	v_pk_add_f32 v[116:117], v[200:201], v[116:117]
	v_mov_b32_e32 v205, v207
	v_pk_add_f32 v[118:119], v[174:175], v[118:119]
	v_mov_b32_e32 v179, v181
	;; [unrolled: 2-line block ×8, first 2 shown]
	v_pk_add_f32 v[116:117], v[216:217], v[116:117]
	v_pk_add_f32 v[118:119], v[190:191], v[118:119]
	v_mov_b32_e32 v147, v149
	v_mov_b32_e32 v95, v97
	;; [unrolled: 1-line block ×3, first 2 shown]
	ds_write2_b64 v26, v[116:117], v[118:119] offset0:32 offset1:36
	v_mov_b32_e32 v153, v155
	v_pk_add_f32 v[116:117], v[146:147], v[24:25]
	v_mov_b32_e32 v99, v101
	v_pk_add_f32 v[94:95], v[94:95], v[24:25]
	v_pk_add_f32 v[24:25], v[60:61], v[24:25]
	v_mov_b32_e32 v53, v27
	v_pk_add_f32 v[116:117], v[152:153], v[116:117]
	v_mov_b32_e32 v157, v159
	;; [unrolled: 2-line block ×13, first 2 shown]
	v_pk_add_f32 v[116:117], v[168:169], v[116:117]
	v_pk_add_f32 v[94:95], v[142:143], v[94:95]
	;; [unrolled: 1-line block ×3, first 2 shown]
	ds_write2_b64 v26, v[116:117], v[94:95] offset0:40 offset1:44
	ds_write_b64 v26, v[24:25] offset:384
	s_and_saveexec_b64 s[42:43], vcc
	s_cbranch_execz .LBB0_29
; %bb.28:
	v_mov_b32_e32 v26, v91
	v_mov_b32_e32 v62, v19
	v_lshrrev_b32_e32 v19, 2, v77
	v_pk_mul_f32 v[26:27], v[26:27], v[50:51] op_sel_hi:[0,1]
	v_mov_b32_e32 v54, v23
	v_mov_b32_e32 v58, v21
	v_mul_u32_u24_e32 v19, 52, v19
	v_pk_mul_f32 v[54:55], v[54:55], v[48:49] op_sel_hi:[0,1]
	v_pk_mul_f32 v[58:59], v[58:59], v[46:47] op_sel_hi:[0,1]
	v_pk_mul_f32 v[60:61], v[12:13], v[30:31] op_sel:[1,0]
	v_pk_mul_f32 v[62:63], v[62:63], v[44:45] op_sel_hi:[0,1]
	v_or_b32_e32 v19, v19, v79
	v_pk_fma_f32 v[92:93], v[90:91], v[50:51], v[26:27] op_sel:[0,0,1] op_sel_hi:[1,1,0]
	v_pk_fma_f32 v[26:27], v[90:91], v[50:51], v[26:27] op_sel:[0,0,1] op_sel_hi:[0,1,0] neg_lo:[1,0,0] neg_hi:[1,0,0]
	v_pk_mul_f32 v[66:67], v[16:17], v[42:43] op_sel:[1,0]
	v_lshl_add_u32 v77, v19, 3, 0
	v_mov_b32_e32 v93, v27
	v_pk_fma_f32 v[26:27], v[22:23], v[48:49], v[54:55] op_sel:[0,0,1] op_sel_hi:[1,1,0]
	v_pk_fma_f32 v[22:23], v[22:23], v[48:49], v[54:55] op_sel:[0,0,1] op_sel_hi:[0,1,0] neg_lo:[1,0,0] neg_hi:[1,0,0]
	v_pk_fma_f32 v[48:49], v[20:21], v[46:47], v[58:59] op_sel:[0,0,1] op_sel_hi:[1,1,0]
	v_pk_fma_f32 v[20:21], v[20:21], v[46:47], v[58:59] op_sel:[0,0,1] op_sel_hi:[0,1,0] neg_lo:[1,0,0] neg_hi:[1,0,0]
	;; [unrolled: 2-line block ×4, first 2 shown]
	v_pk_mul_f32 v[64:65], v[14:15], v[36:37] op_sel:[1,0]
	v_pk_mul_f32 v[68:69], v[8:9], v[38:39] op_sel:[1,0]
	;; [unrolled: 1-line block ×3, first 2 shown]
	v_mov_b32_e32 v45, v13
	v_pk_fma_f32 v[30:31], v[16:17], v[42:43], v[66:67] op_sel:[0,0,1] op_sel_hi:[1,1,0]
	v_pk_fma_f32 v[12:13], v[16:17], v[42:43], v[66:67] op_sel:[0,0,1] op_sel_hi:[0,1,0] neg_lo:[1,0,0] neg_hi:[1,0,0]
	v_pk_mul_f32 v[24:25], v[2:3], v[32:33] op_sel:[1,0]
	v_mov_b32_e32 v31, v13
	v_pk_fma_f32 v[42:43], v[14:15], v[36:37], v[64:65] op_sel:[0,0,1] op_sel_hi:[1,1,0]
	v_pk_fma_f32 v[12:13], v[14:15], v[36:37], v[64:65] op_sel:[0,0,1] op_sel_hi:[0,1,0] neg_lo:[1,0,0] neg_hi:[1,0,0]
	v_pk_fma_f32 v[36:37], v[10:11], v[40:41], v[70:71] op_sel:[0,0,1] op_sel_hi:[1,1,0]
	v_pk_fma_f32 v[10:11], v[10:11], v[40:41], v[70:71] op_sel:[0,0,1] op_sel_hi:[0,1,0] neg_lo:[1,0,0] neg_hi:[1,0,0]
	;; [unrolled: 2-line block ×3, first 2 shown]
	v_mov_b32_e32 v41, v9
	v_pk_fma_f32 v[8:9], v[2:3], v[32:33], v[24:25] op_sel:[0,0,1] op_sel_hi:[1,1,0]
	v_pk_fma_f32 v[2:3], v[2:3], v[32:33], v[24:25] op_sel:[0,0,1] op_sel_hi:[0,1,0] neg_lo:[1,0,0] neg_hi:[1,0,0]
	v_pk_mul_f32 v[52:53], v[4:5], v[34:35] op_sel:[1,0]
	v_mov_b32_e32 v9, v3
	v_pk_mul_f32 v[56:57], v[6:7], v[28:29] op_sel:[1,0]
	v_pk_fma_f32 v[32:33], v[4:5], v[34:35], v[52:53] op_sel:[0,0,1] op_sel_hi:[1,1,0]
	v_pk_fma_f32 v[2:3], v[4:5], v[34:35], v[52:53] op_sel:[0,0,1] op_sel_hi:[0,1,0] neg_lo:[1,0,0] neg_hi:[1,0,0]
	v_pk_add_f32 v[38:39], v[8:9], v[92:93] neg_lo:[0,1] neg_hi:[0,1]
	v_mov_b32_e32 v27, v23
	v_mov_b32_e32 v33, v3
	v_pk_fma_f32 v[34:35], v[6:7], v[28:29], v[56:57] op_sel:[0,0,1] op_sel_hi:[1,1,0]
	v_pk_fma_f32 v[2:3], v[6:7], v[28:29], v[56:57] op_sel:[0,0,1] op_sel_hi:[0,1,0] neg_lo:[1,0,0] neg_hi:[1,0,0]
	v_pk_add_f32 v[50:51], v[8:9], v[92:93]
	v_pk_mul_f32 v[4:5], v[38:39], s[26:27] op_sel_hi:[1,0]
	v_mov_b32_e32 v35, v3
	v_pk_add_f32 v[52:53], v[32:33], v[26:27] neg_lo:[0,1] neg_hi:[0,1]
	v_pk_fma_f32 v[2:3], v[50:51], s[2:3], v[4:5] op_sel:[0,0,1] op_sel_hi:[1,0,0]
	v_pk_fma_f32 v[4:5], v[50:51], s[2:3], v[4:5] op_sel:[0,0,1] op_sel_hi:[1,0,0] neg_lo:[0,0,1] neg_hi:[0,0,1]
	v_pk_add_f32 v[28:29], v[0:1], v[8:9]
	v_pk_add_f32 v[54:55], v[32:33], v[26:27]
	v_mov_b32_e32 v6, v2
	v_mov_b32_e32 v7, v5
	v_pk_mul_f32 v[8:9], v[52:53], s[10:11] op_sel_hi:[1,0]
	v_mov_b32_e32 v49, v21
	v_mov_b32_e32 v37, v11
	v_pk_add_f32 v[10:11], v[0:1], v[6:7]
	v_pk_fma_f32 v[6:7], v[54:55], s[6:7], v[8:9] op_sel:[0,0,1] op_sel_hi:[1,0,0]
	v_pk_fma_f32 v[8:9], v[54:55], s[6:7], v[8:9] op_sel:[0,0,1] op_sel_hi:[1,0,0] neg_lo:[0,0,1] neg_hi:[0,0,1]
	v_mov_b32_e32 v43, v13
	v_pk_add_f32 v[56:57], v[34:35], v[48:49] neg_lo:[0,1] neg_hi:[0,1]
	v_mov_b32_e32 v12, v6
	v_mov_b32_e32 v13, v9
	v_pk_add_f32 v[58:59], v[34:35], v[48:49]
	v_pk_add_f32 v[14:15], v[12:13], v[10:11]
	v_pk_mul_f32 v[12:13], v[56:57], s[12:13] op_sel_hi:[1,0]
	v_mov_b32_e32 v47, v19
	v_pk_fma_f32 v[10:11], v[58:59], s[8:9], v[12:13] op_sel:[0,0,1] op_sel_hi:[1,0,0]
	v_pk_fma_f32 v[12:13], v[58:59], s[8:9], v[12:13] op_sel:[0,0,1] op_sel_hi:[1,0,0] neg_lo:[0,0,1] neg_hi:[0,0,1]
	v_pk_add_f32 v[60:61], v[44:45], v[46:47] neg_lo:[0,1] neg_hi:[0,1]
	v_mov_b32_e32 v16, v10
	v_mov_b32_e32 v17, v13
	v_pk_add_f32 v[28:29], v[28:29], v[32:33]
	v_pk_add_f32 v[62:63], v[44:45], v[46:47]
	v_pk_add_f32 v[18:19], v[16:17], v[14:15]
	v_pk_mul_f32 v[16:17], v[60:61], s[18:19] op_sel_hi:[1,0]
	v_pk_add_f32 v[28:29], v[28:29], v[34:35]
	v_pk_fma_f32 v[14:15], v[62:63], s[14:15], v[16:17] op_sel:[0,0,1] op_sel_hi:[1,0,0]
	v_pk_fma_f32 v[16:17], v[62:63], s[14:15], v[16:17] op_sel:[0,0,1] op_sel_hi:[1,0,0] neg_lo:[0,0,1] neg_hi:[0,0,1]
	v_pk_add_f32 v[28:29], v[28:29], v[44:45]
	v_pk_add_f32 v[64:65], v[42:43], v[30:31] neg_lo:[0,1] neg_hi:[0,1]
	v_mov_b32_e32 v20, v14
	v_mov_b32_e32 v21, v17
	v_pk_add_f32 v[28:29], v[28:29], v[42:43]
	v_pk_add_f32 v[66:67], v[42:43], v[30:31]
	v_pk_add_f32 v[22:23], v[20:21], v[18:19]
	v_pk_mul_f32 v[20:21], v[64:65], s[20:21] op_sel_hi:[1,0]
	v_pk_add_f32 v[28:29], v[28:29], v[40:41]
	v_pk_fma_f32 v[18:19], v[66:67], s[16:17], v[20:21] op_sel:[0,0,1] op_sel_hi:[1,0,0]
	v_pk_fma_f32 v[20:21], v[66:67], s[16:17], v[20:21] op_sel:[0,0,1] op_sel_hi:[1,0,0] neg_lo:[0,0,1] neg_hi:[0,0,1]
	v_pk_add_f32 v[28:29], v[28:29], v[36:37]
	;; [unrolled: 11-line block ×3, first 2 shown]
	v_mov_b32_e32 v94, v22
	v_mov_b32_e32 v95, v25
	v_pk_add_f32 v[26:27], v[28:29], v[26:27]
	v_pk_add_f32 v[90:91], v[94:95], v[90:91]
	;; [unrolled: 1-line block ×3, first 2 shown]
	v_pk_mul_f32 v[28:29], v[38:39], s[10:11] op_sel_hi:[1,0]
	ds_write2_b64 v77, v[26:27], v[90:91] offset1:4
	v_pk_fma_f32 v[26:27], v[50:51], s[6:7], v[28:29] op_sel:[0,0,1] op_sel_hi:[1,0,0]
	v_pk_fma_f32 v[28:29], v[50:51], s[6:7], v[28:29] op_sel:[0,0,1] op_sel_hi:[1,0,0] neg_lo:[0,0,1] neg_hi:[0,0,1]
	v_mov_b32_e32 v30, v26
	v_mov_b32_e32 v31, v29
	v_pk_mul_f32 v[32:33], v[52:53], s[18:19] op_sel_hi:[1,0]
	v_pk_add_f32 v[34:35], v[0:1], v[30:31]
	v_pk_fma_f32 v[30:31], v[54:55], s[14:15], v[32:33] op_sel:[0,0,1] op_sel_hi:[1,0,0]
	v_pk_fma_f32 v[32:33], v[54:55], s[14:15], v[32:33] op_sel:[0,0,1] op_sel_hi:[1,0,0] neg_lo:[0,0,1] neg_hi:[0,0,1]
	v_mov_b32_e32 v36, v30
	v_mov_b32_e32 v37, v33
	v_pk_add_f32 v[34:35], v[36:37], v[34:35]
	v_pk_mul_f32 v[36:37], v[56:57], s[24:25] op_sel_hi:[1,0]
	v_pk_mul_f32 v[100:101], v[52:53], s[24:25] op_sel_hi:[1,0]
	v_pk_fma_f32 v[40:41], v[58:59], s[22:23], v[36:37] op_sel:[0,0,1] op_sel_hi:[1,0,0]
	v_pk_fma_f32 v[36:37], v[58:59], s[22:23], v[36:37] op_sel:[0,0,1] op_sel_hi:[1,0,0] neg_lo:[0,0,1] neg_hi:[0,0,1]
	v_mov_b32_e32 v42, v40
	v_mov_b32_e32 v43, v37
	v_pk_add_f32 v[34:35], v[42:43], v[34:35]
	v_pk_mul_f32 v[42:43], v[60:61], s[34:35] op_sel_hi:[1,0]
	v_pk_fma_f32 v[102:103], v[54:55], s[22:23], v[100:101] op_sel:[0,0,1] op_sel_hi:[1,0,0]
	v_pk_fma_f32 v[44:45], v[62:63], s[16:17], v[42:43] op_sel:[0,0,1] op_sel_hi:[1,0,0]
	v_pk_fma_f32 v[42:43], v[62:63], s[16:17], v[42:43] op_sel:[0,0,1] op_sel_hi:[1,0,0] neg_lo:[0,0,1] neg_hi:[0,0,1]
	v_mov_b32_e32 v46, v44
	v_mov_b32_e32 v47, v43
	v_pk_add_f32 v[34:35], v[46:47], v[34:35]
	v_pk_mul_f32 v[46:47], v[64:65], s[28:29] op_sel_hi:[1,0]
	v_pk_fma_f32 v[100:101], v[54:55], s[22:23], v[100:101] op_sel:[0,0,1] op_sel_hi:[1,0,0] neg_lo:[0,0,1] neg_hi:[0,0,1]
	v_pk_fma_f32 v[48:49], v[66:67], s[8:9], v[46:47] op_sel:[0,0,1] op_sel_hi:[1,0,0]
	v_pk_fma_f32 v[46:47], v[66:67], s[8:9], v[46:47] op_sel:[0,0,1] op_sel_hi:[1,0,0] neg_lo:[0,0,1] neg_hi:[0,0,1]
	v_mov_b32_e32 v90, v48
	v_mov_b32_e32 v91, v47
	v_pk_add_f32 v[34:35], v[90:91], v[34:35]
	v_pk_mul_f32 v[90:91], v[68:69], s[30:31] op_sel_hi:[1,0]
	v_mov_b32_e32 v104, v102
	v_pk_fma_f32 v[92:93], v[70:71], s[2:3], v[90:91] op_sel:[0,0,1] op_sel_hi:[1,0,0]
	v_pk_fma_f32 v[90:91], v[70:71], s[2:3], v[90:91] op_sel:[0,0,1] op_sel_hi:[1,0,0] neg_lo:[0,0,1] neg_hi:[0,0,1]
	v_mov_b32_e32 v94, v92
	v_mov_b32_e32 v95, v91
	v_pk_add_f32 v[34:35], v[94:95], v[34:35]
	v_pk_mul_f32 v[94:95], v[38:39], s[12:13] op_sel_hi:[1,0]
	v_mov_b32_e32 v105, v101
	v_pk_fma_f32 v[96:97], v[50:51], s[8:9], v[94:95] op_sel:[0,0,1] op_sel_hi:[1,0,0]
	v_pk_fma_f32 v[94:95], v[50:51], s[8:9], v[94:95] op_sel:[0,0,1] op_sel_hi:[1,0,0] neg_lo:[0,0,1] neg_hi:[0,0,1]
	v_mov_b32_e32 v98, v96
	v_mov_b32_e32 v99, v95
	v_pk_add_f32 v[98:99], v[0:1], v[98:99]
	v_pk_mul_f32 v[124:125], v[52:53], s[34:35] op_sel_hi:[1,0]
	v_pk_add_f32 v[98:99], v[104:105], v[98:99]
	v_pk_mul_f32 v[104:105], v[56:57], s[40:41] op_sel_hi:[1,0]
	v_pk_fma_f32 v[126:127], v[54:55], s[16:17], v[124:125] op_sel:[0,0,1] op_sel_hi:[1,0,0]
	v_pk_fma_f32 v[106:107], v[58:59], s[14:15], v[104:105] op_sel:[0,0,1] op_sel_hi:[1,0,0]
	v_pk_fma_f32 v[104:105], v[58:59], s[14:15], v[104:105] op_sel:[0,0,1] op_sel_hi:[1,0,0] neg_lo:[0,0,1] neg_hi:[0,0,1]
	v_mov_b32_e32 v108, v106
	v_mov_b32_e32 v109, v105
	v_pk_add_f32 v[98:99], v[108:109], v[98:99]
	v_pk_mul_f32 v[108:109], v[60:61], s[30:31] op_sel_hi:[1,0]
	v_pk_fma_f32 v[124:125], v[54:55], s[16:17], v[124:125] op_sel:[0,0,1] op_sel_hi:[1,0,0] neg_lo:[0,0,1] neg_hi:[0,0,1]
	v_pk_fma_f32 v[110:111], v[62:63], s[2:3], v[108:109] op_sel:[0,0,1] op_sel_hi:[1,0,0]
	v_pk_fma_f32 v[108:109], v[62:63], s[2:3], v[108:109] op_sel:[0,0,1] op_sel_hi:[1,0,0] neg_lo:[0,0,1] neg_hi:[0,0,1]
	v_mov_b32_e32 v112, v110
	v_mov_b32_e32 v113, v109
	v_pk_add_f32 v[98:99], v[112:113], v[98:99]
	v_pk_mul_f32 v[112:113], v[64:65], s[10:11] op_sel_hi:[1,0]
	v_mov_b32_e32 v128, v126
	v_pk_fma_f32 v[116:117], v[66:67], s[6:7], v[112:113] op_sel:[0,0,1] op_sel_hi:[1,0,0]
	v_pk_fma_f32 v[112:113], v[66:67], s[6:7], v[112:113] op_sel:[0,0,1] op_sel_hi:[1,0,0] neg_lo:[0,0,1] neg_hi:[0,0,1]
	v_mov_b32_e32 v118, v116
	v_mov_b32_e32 v119, v113
	v_pk_add_f32 v[98:99], v[118:119], v[98:99]
	v_pk_mul_f32 v[118:119], v[68:69], s[20:21] op_sel_hi:[1,0]
	v_mov_b32_e32 v129, v125
	v_pk_fma_f32 v[120:121], v[70:71], s[16:17], v[118:119] op_sel:[0,0,1] op_sel_hi:[1,0,0]
	v_pk_fma_f32 v[118:119], v[70:71], s[16:17], v[118:119] op_sel:[0,0,1] op_sel_hi:[1,0,0] neg_lo:[0,0,1] neg_hi:[0,0,1]
	v_mov_b32_e32 v122, v120
	v_mov_b32_e32 v123, v119
	v_pk_add_f32 v[98:99], v[122:123], v[98:99]
	ds_write2_b64 v77, v[34:35], v[98:99] offset0:8 offset1:12
	v_pk_mul_f32 v[34:35], v[38:39], s[18:19] op_sel_hi:[1,0]
	v_pk_mul_f32 v[150:151], v[52:53], s[28:29] op_sel_hi:[1,0]
	v_pk_fma_f32 v[98:99], v[50:51], s[14:15], v[34:35] op_sel:[0,0,1] op_sel_hi:[1,0,0]
	v_pk_fma_f32 v[34:35], v[50:51], s[14:15], v[34:35] op_sel:[0,0,1] op_sel_hi:[1,0,0] neg_lo:[0,0,1] neg_hi:[0,0,1]
	v_mov_b32_e32 v122, v98
	v_mov_b32_e32 v123, v35
	v_pk_add_f32 v[122:123], v[0:1], v[122:123]
	v_pk_fma_f32 v[152:153], v[54:55], s[8:9], v[150:151] op_sel:[0,0,1] op_sel_hi:[1,0,0]
	v_pk_add_f32 v[122:123], v[128:129], v[122:123]
	v_pk_mul_f32 v[128:129], v[56:57], s[30:31] op_sel_hi:[1,0]
	v_pk_fma_f32 v[150:151], v[54:55], s[8:9], v[150:151] op_sel:[0,0,1] op_sel_hi:[1,0,0] neg_lo:[0,0,1] neg_hi:[0,0,1]
	v_pk_fma_f32 v[130:131], v[58:59], s[2:3], v[128:129] op_sel:[0,0,1] op_sel_hi:[1,0,0]
	v_pk_fma_f32 v[128:129], v[58:59], s[2:3], v[128:129] op_sel:[0,0,1] op_sel_hi:[1,0,0] neg_lo:[0,0,1] neg_hi:[0,0,1]
	v_mov_b32_e32 v132, v130
	v_mov_b32_e32 v133, v129
	v_pk_add_f32 v[122:123], v[132:133], v[122:123]
	v_pk_mul_f32 v[132:133], v[60:61], s[12:13] op_sel_hi:[1,0]
	v_mov_b32_e32 v154, v152
	v_pk_fma_f32 v[134:135], v[62:63], s[8:9], v[132:133] op_sel:[0,0,1] op_sel_hi:[1,0,0]
	v_pk_fma_f32 v[132:133], v[62:63], s[8:9], v[132:133] op_sel:[0,0,1] op_sel_hi:[1,0,0] neg_lo:[0,0,1] neg_hi:[0,0,1]
	v_mov_b32_e32 v136, v134
	v_mov_b32_e32 v137, v133
	v_pk_add_f32 v[122:123], v[136:137], v[122:123]
	v_pk_mul_f32 v[136:137], v[64:65], s[38:39] op_sel_hi:[1,0]
	v_mov_b32_e32 v155, v151
	v_pk_fma_f32 v[138:139], v[66:67], s[22:23], v[136:137] op_sel:[0,0,1] op_sel_hi:[1,0,0]
	v_pk_fma_f32 v[136:137], v[66:67], s[22:23], v[136:137] op_sel:[0,0,1] op_sel_hi:[1,0,0] neg_lo:[0,0,1] neg_hi:[0,0,1]
	v_mov_b32_e32 v140, v138
	v_mov_b32_e32 v141, v137
	v_pk_add_f32 v[122:123], v[140:141], v[122:123]
	v_pk_mul_f32 v[140:141], v[68:69], s[36:37] op_sel_hi:[1,0]
	v_pk_mul_f32 v[52:53], v[52:53], s[30:31] op_sel_hi:[1,0]
	v_pk_fma_f32 v[142:143], v[70:71], s[6:7], v[140:141] op_sel:[0,0,1] op_sel_hi:[1,0,0]
	v_pk_fma_f32 v[140:141], v[70:71], s[6:7], v[140:141] op_sel:[0,0,1] op_sel_hi:[1,0,0] neg_lo:[0,0,1] neg_hi:[0,0,1]
	v_mov_b32_e32 v144, v142
	v_mov_b32_e32 v145, v141
	v_pk_add_f32 v[122:123], v[144:145], v[122:123]
	v_pk_mul_f32 v[144:145], v[38:39], s[20:21] op_sel_hi:[1,0]
	v_pk_mul_f32 v[38:39], v[38:39], s[24:25] op_sel_hi:[1,0]
	v_pk_fma_f32 v[146:147], v[50:51], s[16:17], v[144:145] op_sel:[0,0,1] op_sel_hi:[1,0,0]
	v_pk_fma_f32 v[144:145], v[50:51], s[16:17], v[144:145] op_sel:[0,0,1] op_sel_hi:[1,0,0] neg_lo:[0,0,1] neg_hi:[0,0,1]
	v_mov_b32_e32 v148, v146
	v_mov_b32_e32 v149, v145
	v_pk_add_f32 v[148:149], v[0:1], v[148:149]
	v_mov_b32_e32 v145, v147
	v_pk_add_f32 v[148:149], v[154:155], v[148:149]
	v_pk_mul_f32 v[154:155], v[56:57], s[10:11] op_sel_hi:[1,0]
	v_pk_mul_f32 v[56:57], v[56:57], s[20:21] op_sel_hi:[1,0]
	v_pk_fma_f32 v[156:157], v[58:59], s[6:7], v[154:155] op_sel:[0,0,1] op_sel_hi:[1,0,0]
	v_pk_fma_f32 v[154:155], v[58:59], s[6:7], v[154:155] op_sel:[0,0,1] op_sel_hi:[1,0,0] neg_lo:[0,0,1] neg_hi:[0,0,1]
	v_mov_b32_e32 v158, v156
	v_mov_b32_e32 v159, v155
	v_pk_add_f32 v[148:149], v[158:159], v[148:149]
	v_pk_mul_f32 v[158:159], v[60:61], s[38:39] op_sel_hi:[1,0]
	v_pk_mul_f32 v[60:61], v[60:61], s[36:37] op_sel_hi:[1,0]
	v_pk_fma_f32 v[160:161], v[62:63], s[22:23], v[158:159] op_sel:[0,0,1] op_sel_hi:[1,0,0]
	v_pk_fma_f32 v[158:159], v[62:63], s[22:23], v[158:159] op_sel:[0,0,1] op_sel_hi:[1,0,0] neg_lo:[0,0,1] neg_hi:[0,0,1]
	v_mov_b32_e32 v162, v160
	;; [unrolled: 7-line block ×4, first 2 shown]
	v_mov_b32_e32 v171, v167
	v_pk_add_f32 v[148:149], v[170:171], v[148:149]
	ds_write2_b64 v77, v[122:123], v[148:149] offset0:16 offset1:20
	v_pk_fma_f32 v[122:123], v[50:51], s[22:23], v[38:39] op_sel:[0,0,1] op_sel_hi:[1,0,0]
	v_pk_fma_f32 v[38:39], v[50:51], s[22:23], v[38:39] op_sel:[0,0,1] op_sel_hi:[1,0,0] neg_lo:[0,0,1] neg_hi:[0,0,1]
	v_mov_b32_e32 v50, v122
	v_mov_b32_e32 v51, v39
	v_pk_fma_f32 v[148:149], v[54:55], s[2:3], v[52:53] op_sel:[0,0,1] op_sel_hi:[1,0,0]
	v_pk_fma_f32 v[52:53], v[54:55], s[2:3], v[52:53] op_sel:[0,0,1] op_sel_hi:[1,0,0] neg_lo:[0,0,1] neg_hi:[0,0,1]
	v_pk_add_f32 v[50:51], v[0:1], v[50:51]
	v_mov_b32_e32 v54, v148
	v_mov_b32_e32 v55, v53
	v_pk_add_f32 v[50:51], v[54:55], v[50:51]
	v_pk_fma_f32 v[54:55], v[58:59], s[16:17], v[56:57] op_sel:[0,0,1] op_sel_hi:[1,0,0]
	v_pk_fma_f32 v[56:57], v[58:59], s[16:17], v[56:57] op_sel:[0,0,1] op_sel_hi:[1,0,0] neg_lo:[0,0,1] neg_hi:[0,0,1]
	v_mov_b32_e32 v58, v54
	v_mov_b32_e32 v59, v57
	v_pk_add_f32 v[50:51], v[58:59], v[50:51]
	v_pk_fma_f32 v[58:59], v[62:63], s[6:7], v[60:61] op_sel:[0,0,1] op_sel_hi:[1,0,0]
	v_pk_fma_f32 v[60:61], v[62:63], s[6:7], v[60:61] op_sel:[0,0,1] op_sel_hi:[1,0,0] neg_lo:[0,0,1] neg_hi:[0,0,1]
	v_mov_b32_e32 v39, v123
	v_mov_b32_e32 v62, v58
	;; [unrolled: 1-line block ×3, first 2 shown]
	v_pk_add_f32 v[38:39], v[0:1], v[38:39]
	v_mov_b32_e32 v53, v149
	v_pk_add_f32 v[50:51], v[62:63], v[50:51]
	v_pk_fma_f32 v[62:63], v[66:67], s[14:15], v[64:65] op_sel:[0,0,1] op_sel_hi:[1,0,0]
	v_pk_fma_f32 v[64:65], v[66:67], s[14:15], v[64:65] op_sel:[0,0,1] op_sel_hi:[1,0,0] neg_lo:[0,0,1] neg_hi:[0,0,1]
	v_pk_add_f32 v[38:39], v[52:53], v[38:39]
	v_mov_b32_e32 v57, v55
	v_mov_b32_e32 v66, v62
	;; [unrolled: 1-line block ×3, first 2 shown]
	v_pk_add_f32 v[38:39], v[56:57], v[38:39]
	v_mov_b32_e32 v61, v59
	v_pk_add_f32 v[50:51], v[66:67], v[50:51]
	v_pk_fma_f32 v[66:67], v[70:71], s[8:9], v[68:69] op_sel:[0,0,1] op_sel_hi:[1,0,0]
	v_pk_fma_f32 v[68:69], v[70:71], s[8:9], v[68:69] op_sel:[0,0,1] op_sel_hi:[1,0,0] neg_lo:[0,0,1] neg_hi:[0,0,1]
	v_pk_add_f32 v[38:39], v[60:61], v[38:39]
	v_mov_b32_e32 v65, v63
	v_mov_b32_e32 v70, v66
	;; [unrolled: 1-line block ×3, first 2 shown]
	v_pk_add_f32 v[38:39], v[64:65], v[38:39]
	v_mov_b32_e32 v69, v67
	v_pk_add_f32 v[50:51], v[70:71], v[50:51]
	v_pk_add_f32 v[38:39], v[68:69], v[38:39]
	v_mov_b32_e32 v35, v99
	ds_write2_b64 v77, v[50:51], v[38:39] offset0:24 offset1:28
	v_pk_add_f32 v[38:39], v[0:1], v[144:145]
	v_mov_b32_e32 v151, v153
	v_pk_add_f32 v[34:35], v[0:1], v[34:35]
	v_mov_b32_e32 v125, v127
	;; [unrolled: 2-line block ×10, first 2 shown]
	v_pk_add_f32 v[38:39], v[166:167], v[38:39]
	v_pk_add_f32 v[34:35], v[140:141], v[34:35]
	v_mov_b32_e32 v95, v97
	v_mov_b32_e32 v29, v27
	v_mov_b32_e32 v5, v3
	ds_write2_b64 v77, v[38:39], v[34:35] offset0:32 offset1:36
	v_pk_add_f32 v[34:35], v[0:1], v[94:95]
	v_mov_b32_e32 v101, v103
	v_pk_add_f32 v[26:27], v[0:1], v[28:29]
	v_mov_b32_e32 v33, v31
	;; [unrolled: 2-line block ×15, first 2 shown]
	v_pk_add_f32 v[34:35], v[118:119], v[34:35]
	v_pk_add_f32 v[26:27], v[90:91], v[26:27]
	;; [unrolled: 1-line block ×3, first 2 shown]
	ds_write2_b64 v77, v[34:35], v[26:27] offset0:40 offset1:44
	ds_write_b64 v77, v[0:1] offset:384
.LBB0_29:
	s_or_b64 exec, exec, s[42:43]
	v_mul_u32_u24_e32 v0, 6, v74
	v_lshlrev_b32_e32 v0, 3, v0
	s_movk_i32 s2, 0x4f
	s_waitcnt lgkmcnt(0)
	; wave barrier
	s_waitcnt lgkmcnt(0)
	global_load_dwordx4 v[46:49], v0, s[4:5] offset:416
	global_load_dwordx4 v[32:35], v0, s[4:5] offset:400
	;; [unrolled: 1-line block ×3, first 2 shown]
	v_mul_lo_u16_sdwa v0, v75, s2 dst_sel:DWORD dst_unused:UNUSED_PAD src0_sel:BYTE_0 src1_sel:DWORD
	v_lshrrev_b16_e32 v0, 12, v0
	v_mul_lo_u16_e32 v0, 52, v0
	v_sub_u16_e32 v0, v75, v0
	v_and_b32_e32 v45, 0xff, v0
	v_mul_u32_u24_e32 v0, 6, v45
	v_lshlrev_b32_e32 v39, 3, v0
	global_load_dwordx4 v[50:53], v39, s[4:5] offset:416
	ds_read2_b64 v[16:19], v114 offset1:52
	ds_read2_b64 v[0:3], v114 offset0:104 offset1:156
	v_add_u32_e32 v41, 0x800, v114
	v_add_u32_e32 v40, 0x1000, v114
	;; [unrolled: 1-line block ×5, first 2 shown]
	ds_read_b64 v[36:37], v114 offset:8320
	ds_read2_b64 v[54:57], v41 offset0:56 offset1:108
	ds_read2_b64 v[8:11], v41 offset0:160 offset1:212
	;; [unrolled: 1-line block ×8, first 2 shown]
	global_load_dwordx4 v[20:23], v39, s[4:5] offset:432
	global_load_dwordx4 v[28:31], v39, s[4:5] offset:400
	s_waitcnt lgkmcnt(9)
	v_mov_b32_e32 v38, v3
	s_waitcnt lgkmcnt(3)
	v_mov_b32_e32 v96, v67
	v_mov_b32_e32 v70, v55
	;; [unrolled: 1-line block ×3, first 2 shown]
	s_mov_b32 s18, 0x3f08b237
	s_mov_b32 s14, 0x3d64c772
	;; [unrolled: 1-line block ×12, first 2 shown]
	s_waitcnt lgkmcnt(0)
	; wave barrier
	s_waitcnt lgkmcnt(0)
	v_lshl_add_u32 v45, v45, 3, 0
	v_mov_b32_e32 v77, 0
	v_mov_b32_e32 v89, v77
	;; [unrolled: 1-line block ×7, first 2 shown]
	s_waitcnt vmcnt(5)
	v_mul_f32_e32 v39, v47, v10
	v_pk_mul_f32 v[110:111], v[60:61], v[48:49] op_sel:[1,0] op_sel_hi:[0,1]
	s_waitcnt vmcnt(4)
	v_pk_mul_f32 v[112:113], v[32:33], v[2:3] op_sel_hi:[1,0]
	s_waitcnt vmcnt(3)
	v_pk_mul_f32 v[120:121], v[66:67], v[26:27] op_sel_hi:[0,1]
	v_mul_f32_e32 v98, v46, v10
	v_mov_b32_e32 v10, v47
	v_pk_mul_f32 v[104:105], v[90:91], v[46:47] op_sel:[1,0] op_sel_hi:[0,1]
	v_mul_f32_e32 v71, v58, v49
	v_pk_mul_f32 v[116:117], v[34:35], v[54:55] op_sel_hi:[1,0]
	v_fma_f32 v110, v46, v11, -v39
	v_pk_fma_f32 v[38:39], v[32:33], v[38:39], v[112:113] op_sel:[0,0,1] op_sel_hi:[1,1,0] neg_lo:[0,0,1] neg_hi:[0,0,1]
	v_pk_fma_f32 v[2:3], v[32:33], v[2:3], v[112:113] op_sel:[0,1,1] op_sel_hi:[1,1,0]
	v_pk_fma_f32 v[96:97], v[96:97], v[26:27], v[120:121] op_sel:[0,0,1] op_sel_hi:[1,1,0] neg_lo:[0,0,1] neg_hi:[0,0,1]
	v_pk_fma_f32 v[66:67], v[66:67], v[26:27], v[120:121] op_sel:[1,0,1] op_sel_hi:[1,1,0]
	v_pk_mul_f32 v[118:119], v[64:65], v[24:25] op_sel_hi:[0,1]
	v_pk_mul_f32 v[122:123], v[90:91], v[10:11] op_sel:[1,0] op_sel_hi:[0,1]
	v_mov_b32_e32 v10, v105
	v_fma_f32 v124, v59, v48, -v71
	v_pk_fma_f32 v[70:71], v[34:35], v[70:71], v[116:117] op_sel:[0,0,1] op_sel_hi:[1,1,0] neg_lo:[0,0,1] neg_hi:[0,0,1]
	v_pk_fma_f32 v[54:55], v[34:35], v[54:55], v[116:117] op_sel:[0,1,1] op_sel_hi:[1,1,0]
	v_mov_b32_e32 v39, v3
	v_mov_b32_e32 v97, v67
	v_mul_f32_e32 v100, v47, v11
	v_pk_mul_f32 v[102:103], v[90:91], v[46:47]
	v_pk_fma_f32 v[94:95], v[94:95], v[24:25], v[118:119] op_sel:[0,0,1] op_sel_hi:[1,1,0] neg_lo:[0,0,1] neg_hi:[0,0,1]
	v_pk_fma_f32 v[46:47], v[90:91], v[46:47], v[10:11] op_sel:[1,0,0] op_sel_hi:[0,1,1] neg_lo:[0,0,1] neg_hi:[0,0,1]
	v_mov_b32_e32 v71, v55
	v_pk_add_f32 v[54:55], v[38:39], v[96:97]
	s_waitcnt vmcnt(2)
	v_mov_b32_e32 v2, v51
	v_pk_mul_f32 v[10:11], v[92:93], v[50:51] op_sel:[1,0] op_sel_hi:[0,1]
	v_pk_mul_f32 v[112:113], v[62:63], v[52:53] op_sel:[1,0] op_sel_hi:[0,1]
	v_mul_f32_e32 v104, v58, v48
	v_mul_f32_e32 v106, v59, v49
	v_mov_b32_e32 v58, v49
	v_mov_b32_e32 v126, v111
	v_pk_fma_f32 v[64:65], v[64:65], v[24:25], v[118:119] op_sel:[1,0,1] op_sel_hi:[1,1,0]
	v_mov_b32_e32 v105, v38
	v_mov_b32_e32 v10, v53
	v_pk_mul_f32 v[116:117], v[92:93], v[2:3] op_sel:[1,0] op_sel_hi:[0,1]
	v_mov_b32_e32 v2, v11
	v_mov_b32_e32 v54, v113
	;; [unrolled: 1-line block ×5, first 2 shown]
	v_pk_mul_f32 v[108:109], v[60:61], v[48:49]
	v_pk_mul_f32 v[58:59], v[60:61], v[58:59] op_sel:[1,0] op_sel_hi:[0,1]
	v_pk_fma_f32 v[48:49], v[60:61], v[48:49], v[126:127] op_sel:[1,0,0] op_sel_hi:[0,1,1] neg_lo:[0,0,1] neg_hi:[0,0,1]
	v_mov_b32_e32 v95, v65
	v_pk_add_f32 v[60:61], v[38:39], v[96:97] neg_lo:[0,1] neg_hi:[0,1]
	v_pk_mul_f32 v[38:39], v[92:93], v[50:51]
	v_pk_mul_f32 v[90:91], v[62:63], v[52:53]
	v_pk_mul_f32 v[118:119], v[62:63], v[10:11] op_sel:[1,0] op_sel_hi:[0,1]
	v_pk_fma_f32 v[10:11], v[92:93], v[50:51], v[2:3] op_sel:[1,0,0] op_sel_hi:[0,1,1] neg_lo:[0,0,1] neg_hi:[0,0,1]
	v_pk_fma_f32 v[2:3], v[62:63], v[52:53], v[54:55] op_sel:[1,0,0] op_sel_hi:[0,1,1] neg_lo:[0,0,1] neg_hi:[0,0,1]
	v_pk_add_f32 v[50:51], v[104:105], v[106:107]
	v_pk_add_f32 v[52:53], v[98:99], v[100:101]
	;; [unrolled: 1-line block ×3, first 2 shown]
	v_mov_b32_e32 v125, v50
	v_mov_b32_e32 v111, v52
	v_pk_add_f32 v[66:67], v[70:71], v[94:95] neg_lo:[0,1] neg_hi:[0,1]
	v_pk_add_f32 v[62:63], v[124:125], v[110:111] neg_lo:[0,1] neg_hi:[0,1]
	v_mov_b32_e32 v96, v65
	v_mov_b32_e32 v97, v110
	;; [unrolled: 1-line block ×8, first 2 shown]
	v_pk_add_f32 v[96:97], v[96:97], v[98:99]
	v_pk_add_f32 v[98:99], v[52:53], v[50:51]
	v_pk_add_f32 v[70:71], v[70:71], v[92:93] neg_lo:[0,1] neg_hi:[0,1]
	v_mov_b32_e32 v92, v60
	v_mov_b32_e32 v94, v62
	;; [unrolled: 1-line block ×9, first 2 shown]
	v_pk_add_f32 v[92:93], v[92:93], v[94:95] neg_lo:[0,1] neg_hi:[0,1]
	v_pk_add_f32 v[100:101], v[50:51], v[100:101] neg_lo:[0,1] neg_hi:[0,1]
	;; [unrolled: 1-line block ×3, first 2 shown]
	v_pk_mul_f32 v[70:71], v[70:71], s[18:19]
	v_pk_mul_f32 v[94:95], v[92:93], s[6:7]
	v_pk_add_f32 v[62:63], v[62:63], v[66:67]
	v_pk_add_f32 v[96:97], v[96:97], v[98:99]
	v_pk_mul_f32 v[98:99], v[100:101], s[14:15]
	v_pk_mul_f32 v[100:101], v[104:105], s[16:17]
	v_mov_b32_e32 v52, v65
	v_mov_b32_e32 v50, v55
	v_pk_add_f32 v[62:63], v[62:63], v[60:61]
	v_pk_add_f32 v[16:17], v[96:97], v[16:17]
	v_pk_add_f32 v[60:61], v[66:67], v[60:61] neg_lo:[0,1] neg_hi:[0,1]
	v_pk_add_f32 v[50:51], v[52:53], v[50:51] neg_lo:[0,1] neg_hi:[0,1]
	v_mov_b32_e32 v52, v100
	v_mov_b32_e32 v53, v99
	;; [unrolled: 1-line block ×4, first 2 shown]
	v_pk_fma_f32 v[96:97], v[96:97], s[12:13], v[16:17] op_sel_hi:[1,0,1] neg_lo:[1,0,0] neg_hi:[1,0,0]
	v_pk_fma_f32 v[52:53], v[50:51], s[10:11], v[52:53] op_sel_hi:[1,0,1] neg_lo:[1,0,1] neg_hi:[1,0,1]
	;; [unrolled: 1-line block ×3, first 2 shown]
	v_pk_fma_f32 v[104:105], v[104:105], s[16:17], v[98:99]
	v_pk_fma_f32 v[92:93], v[92:93], s[6:7], v[70:71]
	v_pk_add_f32 v[52:53], v[52:53], v[96:97]
	v_pk_fma_f32 v[54:55], v[62:63], s[2:3], v[54:55] op_sel_hi:[1,0,1]
	v_mov_b32_e32 v99, v101
	v_mov_b32_e32 v71, v95
	v_pk_add_f32 v[64:65], v[52:53], v[54:55]
	v_pk_add_f32 v[52:53], v[52:53], v[54:55] neg_lo:[0,1] neg_hi:[0,1]
	v_pk_fma_f32 v[50:51], v[50:51], s[10:11], v[98:99] op_sel_hi:[1,0,1] neg_lo:[0,0,1] neg_hi:[0,0,1]
	v_pk_fma_f32 v[54:55], v[60:61], s[8:9], v[70:71] op_sel_hi:[1,0,1] neg_lo:[0,0,1] neg_hi:[0,0,1]
	v_pk_fma_f32 v[92:93], v[62:63], s[2:3], v[92:93] op_sel_hi:[1,0,1]
	v_pk_add_f32 v[50:51], v[50:51], v[96:97]
	v_pk_fma_f32 v[54:55], v[62:63], s[2:3], v[54:55] op_sel_hi:[1,0,1]
	v_pk_mul_f32 v[62:63], v[12:13], v[32:33] op_sel_hi:[0,1]
	v_pk_add_f32 v[60:61], v[50:51], v[54:55] neg_lo:[0,1] neg_hi:[0,1]
	v_pk_add_f32 v[50:51], v[50:51], v[54:55]
	v_mov_b32_e32 v54, v13
	v_pk_fma_f32 v[12:13], v[12:13], v[32:33], v[62:63] op_sel:[1,0,1] op_sel_hi:[1,1,0]
	v_pk_fma_f32 v[54:55], v[54:55], v[32:33], v[62:63] op_sel:[0,0,1] op_sel_hi:[1,1,0] neg_lo:[0,0,1] neg_hi:[0,0,1]
	v_mov_b32_e32 v12, v57
	v_pk_mul_f32 v[32:33], v[56:57], v[34:35] op_sel_hi:[0,1]
	v_mov_b32_e32 v55, v13
	v_pk_fma_f32 v[12:13], v[12:13], v[34:35], v[32:33] op_sel:[0,0,1] op_sel_hi:[1,1,0] neg_lo:[0,0,1] neg_hi:[0,0,1]
	v_pk_fma_f32 v[32:33], v[56:57], v[34:35], v[32:33] op_sel:[1,0,1] op_sel_hi:[1,1,0]
	v_pk_mul_f32 v[34:35], v[4:5], v[24:25] op_sel_hi:[0,1]
	v_mov_b32_e32 v32, v5
	v_pk_fma_f32 v[4:5], v[4:5], v[24:25], v[34:35] op_sel:[1,0,1] op_sel_hi:[1,1,0]
	v_mov_b32_e32 v13, v33
	v_pk_fma_f32 v[32:33], v[32:33], v[24:25], v[34:35] op_sel:[0,0,1] op_sel_hi:[1,1,0] neg_lo:[0,0,1] neg_hi:[0,0,1]
	v_mov_b32_e32 v4, v69
	v_pk_mul_f32 v[24:25], v[68:69], v[26:27] op_sel_hi:[0,1]
	v_mov_b32_e32 v33, v5
	v_pk_fma_f32 v[4:5], v[4:5], v[26:27], v[24:25] op_sel:[0,0,1] op_sel_hi:[1,1,0] neg_lo:[0,0,1] neg_hi:[0,0,1]
	v_pk_fma_f32 v[24:25], v[68:69], v[26:27], v[24:25] op_sel:[1,0,1] op_sel_hi:[1,1,0]
	v_mov_b32_e32 v109, v54
	v_mov_b32_e32 v5, v25
	;; [unrolled: 1-line block ×5, first 2 shown]
	v_pk_add_f32 v[24:25], v[54:55], v[4:5]
	v_pk_add_f32 v[26:27], v[54:55], v[4:5] neg_lo:[0,1] neg_hi:[0,1]
	v_pk_add_f32 v[34:35], v[12:13], v[32:33]
	v_pk_add_f32 v[56:57], v[12:13], v[32:33] neg_lo:[0,1] neg_hi:[0,1]
	v_pk_add_f32 v[4:5], v[108:109], v[58:59]
	v_pk_add_f32 v[12:13], v[102:103], v[122:123]
	v_mov_b32_e32 v49, v4
	v_mov_b32_e32 v47, v12
	v_pk_add_f32 v[32:33], v[48:49], v[46:47] neg_lo:[0,1] neg_hi:[0,1]
	v_mov_b32_e32 v66, v35
	v_mov_b32_e32 v67, v46
	v_mov_b32_e32 v46, v25
	v_mov_b32_e32 v47, v48
	v_mov_b32_e32 v54, v32
	v_mov_b32_e32 v55, v27
	v_mov_b32_e32 v58, v56
	v_mov_b32_e32 v59, v33
	v_pk_add_f32 v[46:47], v[66:67], v[46:47]
	v_pk_add_f32 v[48:49], v[12:13], v[4:5]
	v_pk_add_f32 v[54:55], v[54:55], v[58:59] neg_lo:[0,1] neg_hi:[0,1]
	v_mov_b32_e32 v58, v26
	v_mov_b32_e32 v62, v32
	;; [unrolled: 1-line block ×8, first 2 shown]
	v_pk_add_f32 v[58:59], v[58:59], v[62:63] neg_lo:[0,1] neg_hi:[0,1]
	v_pk_add_f32 v[66:67], v[4:5], v[66:67] neg_lo:[0,1] neg_hi:[0,1]
	;; [unrolled: 1-line block ×3, first 2 shown]
	v_pk_mul_f32 v[54:55], v[54:55], s[18:19]
	v_pk_mul_f32 v[62:63], v[58:59], s[6:7]
	v_pk_add_f32 v[32:33], v[32:33], v[56:57]
	v_pk_add_f32 v[46:47], v[46:47], v[48:49]
	v_pk_mul_f32 v[48:49], v[66:67], s[14:15]
	v_pk_mul_f32 v[66:67], v[68:69], s[16:17]
	v_mov_b32_e32 v12, v35
	v_mov_b32_e32 v4, v25
	v_pk_add_f32 v[32:33], v[32:33], v[26:27]
	v_pk_add_f32 v[18:19], v[46:47], v[18:19]
	v_pk_add_f32 v[26:27], v[56:57], v[26:27] neg_lo:[0,1] neg_hi:[0,1]
	v_pk_add_f32 v[4:5], v[12:13], v[4:5] neg_lo:[0,1] neg_hi:[0,1]
	v_mov_b32_e32 v12, v66
	v_mov_b32_e32 v13, v49
	;; [unrolled: 1-line block ×4, first 2 shown]
	v_pk_fma_f32 v[46:47], v[46:47], s[12:13], v[18:19] op_sel_hi:[1,0,1] neg_lo:[1,0,0] neg_hi:[1,0,0]
	v_pk_fma_f32 v[12:13], v[4:5], s[10:11], v[12:13] op_sel_hi:[1,0,1] neg_lo:[1,0,1] neg_hi:[1,0,1]
	v_pk_fma_f32 v[24:25], v[26:27], s[8:9], v[24:25] op_sel_hi:[1,0,1] neg_lo:[1,0,1] neg_hi:[1,0,1]
	v_pk_fma_f32 v[68:69], v[68:69], s[16:17], v[48:49]
	v_pk_fma_f32 v[58:59], v[58:59], s[6:7], v[54:55]
	v_pk_add_f32 v[12:13], v[12:13], v[46:47]
	v_pk_fma_f32 v[24:25], v[32:33], s[2:3], v[24:25] op_sel_hi:[1,0,1]
	v_mov_b32_e32 v49, v67
	v_mov_b32_e32 v55, v63
	v_pk_add_f32 v[34:35], v[12:13], v[24:25]
	v_pk_add_f32 v[12:13], v[12:13], v[24:25] neg_lo:[0,1] neg_hi:[0,1]
	v_pk_fma_f32 v[4:5], v[4:5], s[10:11], v[48:49] op_sel_hi:[1,0,1] neg_lo:[0,0,1] neg_hi:[0,0,1]
	v_pk_fma_f32 v[24:25], v[26:27], s[8:9], v[54:55] op_sel_hi:[1,0,1] neg_lo:[0,0,1] neg_hi:[0,0,1]
	v_pk_add_f32 v[4:5], v[4:5], v[46:47]
	v_pk_fma_f32 v[24:25], v[32:33], s[2:3], v[24:25] op_sel_hi:[1,0,1]
	v_pk_fma_f32 v[58:59], v[32:33], s[2:3], v[58:59] op_sel_hi:[1,0,1]
	v_pk_add_f32 v[26:27], v[4:5], v[24:25] neg_lo:[0,1] neg_hi:[0,1]
	v_pk_add_f32 v[4:5], v[4:5], v[24:25]
	v_mov_b32_e32 v24, v15
	s_waitcnt vmcnt(0)
	v_pk_mul_f32 v[32:33], v[14:15], v[28:29] op_sel_hi:[0,1]
	v_pk_fma_f32 v[24:25], v[24:25], v[28:29], v[32:33] op_sel:[0,0,1] op_sel_hi:[1,1,0] neg_lo:[0,0,1] neg_hi:[0,0,1]
	v_pk_fma_f32 v[14:15], v[14:15], v[28:29], v[32:33] op_sel:[1,0,1] op_sel_hi:[1,1,0]
	v_pk_mul_f32 v[28:29], v[8:9], v[30:31] op_sel_hi:[0,1]
	v_mov_b32_e32 v14, v9
	v_pk_fma_f32 v[8:9], v[8:9], v[30:31], v[28:29] op_sel:[1,0,1] op_sel_hi:[1,1,0]
	v_mov_b32_e32 v25, v15
	v_pk_fma_f32 v[14:15], v[14:15], v[30:31], v[28:29] op_sel:[0,0,1] op_sel_hi:[1,1,0] neg_lo:[0,0,1] neg_hi:[0,0,1]
	v_mov_b32_e32 v8, v7
	v_pk_mul_f32 v[28:29], v[6:7], v[20:21] op_sel_hi:[0,1]
	v_pk_add_f32 v[104:105], v[104:105], v[96:97]
	v_mov_b32_e32 v15, v9
	v_pk_fma_f32 v[8:9], v[8:9], v[20:21], v[28:29] op_sel:[0,0,1] op_sel_hi:[1,1,0] neg_lo:[0,0,1] neg_hi:[0,0,1]
	v_pk_fma_f32 v[6:7], v[6:7], v[20:21], v[28:29] op_sel:[1,0,1] op_sel_hi:[1,1,0]
	v_pk_add_f32 v[106:107], v[104:105], v[92:93]
	v_pk_add_f32 v[92:93], v[104:105], v[92:93] neg_lo:[0,1] neg_hi:[0,1]
	v_mov_b32_e32 v9, v7
	v_mov_b32_e32 v6, v37
	v_pk_mul_f32 v[20:21], v[36:37], v[22:23] op_sel_hi:[0,1]
	v_mov_b32_e32 v39, v14
	v_mov_b32_e32 v117, v8
	v_pk_add_f32 v[68:69], v[68:69], v[46:47]
	v_pk_fma_f32 v[6:7], v[6:7], v[22:23], v[20:21] op_sel:[0,0,1] op_sel_hi:[1,1,0] neg_lo:[0,0,1] neg_hi:[0,0,1]
	v_pk_fma_f32 v[20:21], v[36:37], v[22:23], v[20:21] op_sel:[1,0,1] op_sel_hi:[1,1,0]
	v_pk_add_f32 v[28:29], v[14:15], v[8:9]
	v_pk_add_f32 v[30:31], v[14:15], v[8:9] neg_lo:[0,1] neg_hi:[0,1]
	v_pk_add_f32 v[8:9], v[38:39], v[116:117]
	v_mov_b32_e32 v38, v106
	v_mov_b32_e32 v39, v93
	v_pk_add_f32 v[70:71], v[68:69], v[58:59]
	v_pk_add_f32 v[58:59], v[68:69], v[58:59] neg_lo:[0,1] neg_hi:[0,1]
	v_mov_b32_e32 v7, v21
	v_mov_b32_e32 v91, v24
	v_mov_b32_e32 v119, v6
	ds_write2_b64 v114, v[16:17], v[38:39] offset1:52
	v_mov_b32_e32 v16, v64
	v_mov_b32_e32 v17, v53
	;; [unrolled: 1-line block ×5, first 2 shown]
	v_pk_add_f32 v[20:21], v[24:25], v[6:7]
	v_pk_add_f32 v[22:23], v[24:25], v[6:7] neg_lo:[0,1] neg_hi:[0,1]
	v_pk_add_f32 v[6:7], v[90:91], v[118:119]
	ds_write2_b64 v114, v[16:17], v[38:39] offset0:104 offset1:156
	ds_write2_b64 v41, v[92:93], v[18:19] offset0:56 offset1:108
	v_mov_b32_e32 v16, v70
	v_mov_b32_e32 v17, v59
	;; [unrolled: 1-line block ×6, first 2 shown]
	ds_write2_b64 v41, v[16:17], v[18:19] offset0:160 offset1:212
	v_mov_b32_e32 v16, v26
	v_mov_b32_e32 v17, v5
	v_mov_b32_e32 v5, v27
	v_pk_add_f32 v[14:15], v[2:3], v[10:11] neg_lo:[0,1] neg_hi:[0,1]
	ds_write2_b64 v40, v[16:17], v[4:5] offset0:8 offset1:60
	v_mov_b32_e32 v4, v29
	v_mov_b32_e32 v5, v10
	;; [unrolled: 1-line block ×4, first 2 shown]
	v_pk_add_f32 v[2:3], v[4:5], v[10:11]
	v_pk_add_f32 v[4:5], v[8:9], v[6:7]
	v_mov_b32_e32 v24, v14
	v_mov_b32_e32 v25, v23
	;; [unrolled: 1-line block ×9, first 2 shown]
	v_pk_add_f32 v[24:25], v[24:25], v[32:33] neg_lo:[0,1] neg_hi:[0,1]
	v_mov_b32_e32 v32, v22
	v_mov_b32_e32 v36, v14
	;; [unrolled: 1-line block ×3, first 2 shown]
	ds_write2_b64 v40, v[12:13], v[58:59] offset0:112 offset1:164
	v_pk_add_f32 v[10:11], v[6:7], v[10:11] neg_lo:[0,1] neg_hi:[0,1]
	v_mov_b32_e32 v12, v21
	v_mov_b32_e32 v13, v3
	;; [unrolled: 1-line block ×3, first 2 shown]
	v_pk_add_f32 v[2:3], v[2:3], v[4:5]
	v_pk_mul_f32 v[24:25], v[24:25], s[18:19]
	v_pk_add_f32 v[32:33], v[32:33], v[36:37] neg_lo:[0,1] neg_hi:[0,1]
	v_pk_add_f32 v[14:15], v[14:15], v[30:31]
	v_pk_add_f32 v[12:13], v[12:13], v[8:9] neg_lo:[0,1] neg_hi:[0,1]
	v_pk_add_f32 v[0:1], v[2:3], v[0:1]
	v_pk_mul_f32 v[4:5], v[10:11], s[14:15]
	v_pk_add_f32 v[14:15], v[14:15], v[22:23]
	v_pk_mul_f32 v[10:11], v[12:13], s[16:17]
	v_pk_fma_f32 v[2:3], v[2:3], s[12:13], v[0:1] op_sel_hi:[1,0,1] neg_lo:[1,0,0] neg_hi:[1,0,0]
	v_pk_fma_f32 v[12:13], v[12:13], s[16:17], v[4:5]
	v_pk_fma_f32 v[16:17], v[32:33], s[6:7], v[24:25]
	v_pk_add_f32 v[12:13], v[12:13], v[2:3]
	v_pk_fma_f32 v[16:17], v[14:15], s[2:3], v[16:17] op_sel_hi:[1,0,1]
	v_mov_b32_e32 v51, v61
	v_pk_add_f32 v[18:19], v[12:13], v[16:17]
	v_pk_add_f32 v[12:13], v[12:13], v[16:17] neg_lo:[0,1] neg_hi:[0,1]
	v_mov_b32_e32 v53, v65
	v_mov_b32_e32 v16, v18
	;; [unrolled: 1-line block ×3, first 2 shown]
	v_add_u32_e32 v6, 0x1400, v45
	v_pk_mul_f32 v[36:37], v[32:33], s[6:7]
	ds_write2_b64 v43, v[50:51], v[52:53] offset0:80 offset1:132
	ds_write2_b64 v6, v[0:1], v[16:17] offset0:88 offset1:140
	v_mov_b32_e32 v8, v29
	v_mov_b32_e32 v6, v21
	v_pk_add_f32 v[0:1], v[30:31], v[22:23] neg_lo:[0,1] neg_hi:[0,1]
	v_pk_add_f32 v[6:7], v[8:9], v[6:7] neg_lo:[0,1] neg_hi:[0,1]
	v_mov_b32_e32 v8, v10
	v_mov_b32_e32 v9, v5
	;; [unrolled: 1-line block ×6, first 2 shown]
	v_pk_fma_f32 v[8:9], v[6:7], s[10:11], v[8:9] op_sel_hi:[1,0,1] neg_lo:[1,0,1] neg_hi:[1,0,1]
	v_pk_fma_f32 v[16:17], v[0:1], s[8:9], v[16:17] op_sel_hi:[1,0,1] neg_lo:[1,0,1] neg_hi:[1,0,1]
	;; [unrolled: 1-line block ×4, first 2 shown]
	v_pk_add_f32 v[8:9], v[8:9], v[2:3]
	v_pk_fma_f32 v[16:17], v[14:15], s[2:3], v[16:17] op_sel_hi:[1,0,1]
	v_pk_add_f32 v[2:3], v[4:5], v[2:3]
	v_pk_fma_f32 v[0:1], v[14:15], s[2:3], v[0:1] op_sel_hi:[1,0,1]
	v_pk_add_f32 v[20:21], v[8:9], v[16:17]
	v_pk_add_f32 v[8:9], v[8:9], v[16:17] neg_lo:[0,1] neg_hi:[0,1]
	v_pk_add_f32 v[4:5], v[2:3], v[0:1] neg_lo:[0,1] neg_hi:[0,1]
	v_pk_add_f32 v[0:1], v[2:3], v[0:1]
	v_mov_b32_e32 v17, v9
	v_mov_b32_e32 v2, v4
	;; [unrolled: 1-line block ×3, first 2 shown]
	v_add_u32_e32 v4, 0x1800, v45
	v_mov_b32_e32 v1, v5
	v_mov_b32_e32 v9, v21
	v_mov_b32_e32 v16, v20
	ds_write2_b64 v4, v[0:1], v[8:9] offset0:168 offset1:220
	v_mov_b32_e32 v13, v19
	v_lshl_add_u64 v[0:1], v[76:77], 3, s[4:5]
	ds_write2_b64 v4, v[16:17], v[2:3] offset0:64 offset1:116
	ds_write_b64 v45, v[12:13] offset:8320
	s_waitcnt lgkmcnt(0)
	; wave barrier
	s_waitcnt lgkmcnt(0)
	global_load_dwordx4 v[0:3], v[0:1], off offset:2896
	v_lshl_add_u64 v[4:5], v[88:89], 3, s[4:5]
	global_load_dwordx4 v[4:7], v[4:5], off offset:2896
	v_lshl_add_u64 v[8:9], v[84:85], 3, s[4:5]
	;; [unrolled: 2-line block ×6, first 2 shown]
	global_load_dwordx4 v[24:27], v[24:25], off offset:2896
	ds_read2_b64 v[28:31], v41 offset0:56 offset1:108
	ds_read2_b64 v[32:35], v44 offset0:88 offset1:140
	;; [unrolled: 1-line block ×3, first 2 shown]
	ds_read2_b64 v[46:49], v114 offset1:52
	s_mov_b32 s2, 0x3f5db3d7
	s_waitcnt vmcnt(6) lgkmcnt(3)
	v_pk_mul_f32 v[50:51], v[0:1], v[30:31] op_sel:[0,1]
	s_nop 0
	v_pk_fma_f32 v[52:53], v[0:1], v[30:31], v[50:51] op_sel:[0,0,1] op_sel_hi:[1,1,0]
	v_pk_fma_f32 v[0:1], v[0:1], v[30:31], v[50:51] op_sel:[0,0,1] op_sel_hi:[1,0,0] neg_lo:[1,0,0] neg_hi:[1,0,0]
	s_waitcnt vmcnt(4) lgkmcnt(1)
	v_pk_mul_f32 v[30:31], v[38:39], v[8:9] op_sel:[0,1]
	v_mov_b32_e32 v53, v1
	v_pk_mul_f32 v[0:1], v[2:3], v[32:33] op_sel:[0,1]
	v_pk_fma_f32 v[58:59], v[38:39], v[8:9], v[30:31] op_sel:[0,0,1] op_sel_hi:[1,1,0]
	v_pk_fma_f32 v[50:51], v[2:3], v[32:33], v[0:1] op_sel:[0,0,1] op_sel_hi:[1,1,0]
	v_pk_fma_f32 v[0:1], v[2:3], v[32:33], v[0:1] op_sel:[0,0,1] op_sel_hi:[1,0,0] neg_lo:[1,0,0] neg_hi:[1,0,0]
	v_pk_fma_f32 v[8:9], v[38:39], v[8:9], v[30:31] op_sel:[0,0,1] op_sel_hi:[1,0,0] neg_lo:[0,0,1] neg_hi:[0,0,1]
	v_mov_b32_e32 v51, v1
	s_waitcnt lgkmcnt(0)
	v_pk_add_f32 v[0:1], v[46:47], v[52:53]
	v_mov_b32_e32 v8, v11
	v_pk_add_f32 v[54:55], v[0:1], v[50:51]
	v_pk_mul_f32 v[0:1], v[4:5], v[36:37] op_sel:[0,1]
	v_mov_b32_e32 v59, v9
	v_pk_fma_f32 v[56:57], v[4:5], v[36:37], v[0:1] op_sel:[0,0,1] op_sel_hi:[1,1,0]
	v_pk_fma_f32 v[0:1], v[4:5], v[36:37], v[0:1] op_sel:[0,0,1] op_sel_hi:[1,0,0] neg_lo:[1,0,0] neg_hi:[1,0,0]
	s_nop 0
	v_mov_b32_e32 v57, v1
	v_pk_mul_f32 v[0:1], v[6:7], v[34:35] op_sel:[0,1]
	s_nop 0
	v_pk_fma_f32 v[36:37], v[6:7], v[34:35], v[0:1] op_sel:[0,0,1] op_sel_hi:[1,1,0]
	v_pk_fma_f32 v[0:1], v[6:7], v[34:35], v[0:1] op_sel:[0,0,1] op_sel_hi:[1,0,0] neg_lo:[1,0,0] neg_hi:[1,0,0]
	s_nop 0
	v_mov_b32_e32 v37, v1
	v_pk_add_f32 v[0:1], v[48:49], v[56:57]
	s_nop 0
	v_pk_add_f32 v[34:35], v[0:1], v[36:37]
	ds_read2_b64 v[0:3], v114 offset0:104 offset1:156
	ds_read2_b64 v[4:7], v42 offset0:64 offset1:116
	;; [unrolled: 1-line block ×3, first 2 shown]
	s_waitcnt lgkmcnt(1)
	v_pk_mul_f32 v[8:9], v[4:5], v[8:9] op_sel_hi:[1,0]
	s_nop 0
	v_pk_fma_f32 v[38:39], v[4:5], v[10:11], v[8:9] op_sel:[0,0,1] op_sel_hi:[1,1,0]
	v_pk_fma_f32 v[4:5], v[4:5], v[10:11], v[8:9] op_sel:[0,0,1] op_sel_hi:[1,0,0] neg_lo:[0,0,1] neg_hi:[0,0,1]
	s_nop 0
	v_mov_b32_e32 v39, v5
	v_pk_add_f32 v[4:5], v[0:1], v[58:59]
	s_nop 0
	v_pk_add_f32 v[60:61], v[4:5], v[38:39]
	s_waitcnt vmcnt(3) lgkmcnt(0)
	v_pk_mul_f32 v[4:5], v[30:31], v[12:13] op_sel:[0,1]
	s_nop 0
	v_pk_fma_f32 v[62:63], v[30:31], v[12:13], v[4:5] op_sel:[0,0,1] op_sel_hi:[1,1,0]
	v_pk_fma_f32 v[4:5], v[30:31], v[12:13], v[4:5] op_sel:[0,0,1] op_sel_hi:[1,0,0] neg_lo:[0,0,1] neg_hi:[0,0,1]
	s_waitcnt vmcnt(2)
	v_pk_mul_f32 v[12:13], v[32:33], v[16:17] op_sel:[0,1]
	v_mov_b32_e32 v4, v15
	v_mov_b32_e32 v63, v5
	v_pk_mul_f32 v[4:5], v[6:7], v[4:5] op_sel_hi:[1,0]
	v_pk_fma_f32 v[66:67], v[32:33], v[16:17], v[12:13] op_sel:[0,0,1] op_sel_hi:[1,1,0]
	v_pk_fma_f32 v[30:31], v[6:7], v[14:15], v[4:5] op_sel:[0,0,1] op_sel_hi:[1,1,0]
	v_pk_fma_f32 v[4:5], v[6:7], v[14:15], v[4:5] op_sel:[0,0,1] op_sel_hi:[1,0,0] neg_lo:[0,0,1] neg_hi:[0,0,1]
	v_pk_fma_f32 v[12:13], v[32:33], v[16:17], v[12:13] op_sel:[0,0,1] op_sel_hi:[1,0,0] neg_lo:[0,0,1] neg_hi:[0,0,1]
	v_mov_b32_e32 v31, v5
	v_pk_add_f32 v[4:5], v[2:3], v[62:63]
	v_mov_b32_e32 v12, v19
	v_pk_add_f32 v[64:65], v[4:5], v[30:31]
	ds_read2_b64 v[4:7], v43 offset0:80 offset1:132
	ds_read2_b64 v[8:11], v42 offset0:168 offset1:220
	v_mov_b32_e32 v67, v13
	s_waitcnt lgkmcnt(0)
	v_pk_mul_f32 v[16:17], v[8:9], v[12:13] op_sel_hi:[1,0]
	ds_read2_b64 v[12:15], v40 offset0:112 offset1:164
	v_pk_fma_f32 v[32:33], v[8:9], v[18:19], v[16:17] op_sel:[0,0,1] op_sel_hi:[1,1,0]
	v_pk_fma_f32 v[8:9], v[8:9], v[18:19], v[16:17] op_sel:[0,0,1] op_sel_hi:[1,0,0] neg_lo:[0,0,1] neg_hi:[0,0,1]
	s_waitcnt vmcnt(1) lgkmcnt(0)
	v_pk_mul_f32 v[16:17], v[12:13], v[20:21] op_sel:[0,1]
	s_nop 0
	v_pk_fma_f32 v[18:19], v[12:13], v[20:21], v[16:17] op_sel:[0,0,1] op_sel_hi:[1,1,0]
	v_pk_fma_f32 v[12:13], v[12:13], v[20:21], v[16:17] op_sel:[0,0,1] op_sel_hi:[1,0,0] neg_lo:[0,0,1] neg_hi:[0,0,1]
	s_waitcnt vmcnt(0)
	v_pk_mul_f32 v[20:21], v[14:15], v[24:25] op_sel:[0,1]
	v_mov_b32_e32 v12, v23
	v_mov_b32_e32 v19, v13
	v_pk_mul_f32 v[12:13], v[10:11], v[12:13] op_sel_hi:[1,0]
	v_mov_b32_e32 v33, v9
	v_pk_fma_f32 v[16:17], v[10:11], v[22:23], v[12:13] op_sel:[0,0,1] op_sel_hi:[1,1,0]
	v_pk_fma_f32 v[10:11], v[10:11], v[22:23], v[12:13] op_sel:[0,0,1] op_sel_hi:[1,0,0] neg_lo:[0,0,1] neg_hi:[0,0,1]
	ds_read_b64 v[12:13], v114 offset:8320
	v_pk_fma_f32 v[22:23], v[14:15], v[24:25], v[20:21] op_sel:[0,0,1] op_sel_hi:[1,1,0]
	v_pk_fma_f32 v[14:15], v[14:15], v[24:25], v[20:21] op_sel:[0,0,1] op_sel_hi:[1,0,0] neg_lo:[0,0,1] neg_hi:[0,0,1]
	v_pk_add_f32 v[24:25], v[52:53], v[50:51] neg_lo:[0,1] neg_hi:[0,1]
	v_mov_b32_e32 v14, v27
	v_mov_b32_e32 v23, v15
	s_waitcnt lgkmcnt(0)
	v_pk_mul_f32 v[14:15], v[12:13], v[14:15] op_sel_hi:[1,0]
	v_pk_mul_f32 v[24:25], v[24:25], s[2:3] op_sel_hi:[1,0]
	v_pk_fma_f32 v[20:21], v[12:13], v[26:27], v[14:15] op_sel:[0,0,1] op_sel_hi:[1,1,0]
	v_pk_fma_f32 v[12:13], v[12:13], v[26:27], v[14:15] op_sel:[0,0,1] op_sel_hi:[1,0,0] neg_lo:[0,0,1] neg_hi:[0,0,1]
	v_pk_add_f32 v[14:15], v[52:53], v[50:51]
	s_nop 0
	v_pk_fma_f32 v[14:15], v[14:15], 0.5, v[46:47] op_sel_hi:[1,0,1] neg_lo:[1,0,0] neg_hi:[1,0,0]
	; wave barrier
	s_nop 0
	v_pk_add_f32 v[26:27], v[14:15], v[24:25] op_sel:[0,1] op_sel_hi:[1,0] neg_lo:[0,1] neg_hi:[0,1]
	v_pk_add_f32 v[14:15], v[14:15], v[24:25] op_sel:[0,1] op_sel_hi:[1,0]
	v_mov_b32_e32 v24, v26
	v_mov_b32_e32 v25, v15
	;; [unrolled: 1-line block ×3, first 2 shown]
	ds_write2_b64 v114, v[54:55], v[34:35] offset1:52
	v_pk_add_f32 v[26:27], v[56:57], v[36:37]
	v_pk_add_f32 v[34:35], v[56:57], v[36:37] neg_lo:[0,1] neg_hi:[0,1]
	v_pk_fma_f32 v[26:27], v[26:27], 0.5, v[48:49] op_sel_hi:[1,0,1] neg_lo:[1,0,0] neg_hi:[1,0,0]
	v_pk_mul_f32 v[34:35], v[34:35], s[2:3] op_sel_hi:[1,0]
	v_pk_add_f32 v[8:9], v[4:5], v[66:67]
	v_pk_add_f32 v[36:37], v[26:27], v[34:35] op_sel:[0,1] op_sel_hi:[1,0] neg_lo:[0,1] neg_hi:[0,1]
	v_pk_add_f32 v[26:27], v[26:27], v[34:35] op_sel:[0,1] op_sel_hi:[1,0]
	v_mov_b32_e32 v34, v36
	v_mov_b32_e32 v35, v27
	;; [unrolled: 1-line block ×3, first 2 shown]
	ds_write2_b64 v44, v[14:15], v[26:27] offset0:88 offset1:140
	v_pk_add_f32 v[14:15], v[58:59], v[38:39]
	v_mov_b32_e32 v17, v11
	v_pk_fma_f32 v[0:1], v[14:15], 0.5, v[0:1] op_sel_hi:[1,0,1] neg_lo:[1,0,0] neg_hi:[1,0,0]
	v_pk_add_f32 v[14:15], v[58:59], v[38:39] neg_lo:[0,1] neg_hi:[0,1]
	v_pk_add_f32 v[10:11], v[6:7], v[18:19]
	v_pk_mul_f32 v[14:15], v[14:15], s[2:3] op_sel_hi:[1,0]
	v_pk_add_f32 v[8:9], v[8:9], v[32:33]
	v_pk_add_f32 v[26:27], v[0:1], v[14:15] op_sel:[0,1] op_sel_hi:[1,0] neg_lo:[0,1] neg_hi:[0,1]
	v_pk_add_f32 v[0:1], v[0:1], v[14:15] op_sel:[0,1] op_sel_hi:[1,0]
	v_mov_b32_e32 v14, v26
	v_mov_b32_e32 v15, v1
	ds_write2_b64 v41, v[34:35], v[14:15] offset0:160 offset1:212
	v_pk_add_f32 v[14:15], v[62:63], v[30:31]
	v_mov_b32_e32 v1, v27
	v_pk_fma_f32 v[2:3], v[14:15], 0.5, v[2:3] op_sel_hi:[1,0,1] neg_lo:[1,0,0] neg_hi:[1,0,0]
	v_pk_add_f32 v[14:15], v[62:63], v[30:31] neg_lo:[0,1] neg_hi:[0,1]
	v_pk_add_f32 v[10:11], v[10:11], v[16:17]
	v_pk_mul_f32 v[14:15], v[14:15], s[2:3] op_sel_hi:[1,0]
	v_mov_b32_e32 v21, v13
	v_pk_add_f32 v[26:27], v[2:3], v[14:15] op_sel:[0,1] op_sel_hi:[1,0] neg_lo:[0,1] neg_hi:[0,1]
	v_pk_add_f32 v[2:3], v[2:3], v[14:15] op_sel:[0,1] op_sel_hi:[1,0]
	v_mov_b32_e32 v14, v26
	v_mov_b32_e32 v15, v3
	v_mov_b32_e32 v3, v27
	ds_write2_b64 v42, v[0:1], v[2:3] offset0:64 offset1:116
	v_pk_add_f32 v[0:1], v[66:67], v[32:33]
	v_pk_add_f32 v[2:3], v[66:67], v[32:33] neg_lo:[0,1] neg_hi:[0,1]
	v_pk_fma_f32 v[0:1], v[0:1], 0.5, v[4:5] op_sel_hi:[1,0,1] neg_lo:[1,0,0] neg_hi:[1,0,0]
	v_pk_mul_f32 v[2:3], v[2:3], s[2:3] op_sel_hi:[1,0]
	v_pk_add_f32 v[12:13], v[28:29], v[22:23]
	v_pk_add_f32 v[4:5], v[0:1], v[2:3] op_sel:[0,1] op_sel_hi:[1,0] neg_lo:[0,1] neg_hi:[0,1]
	v_pk_add_f32 v[0:1], v[0:1], v[2:3] op_sel:[0,1] op_sel_hi:[1,0]
	v_mov_b32_e32 v2, v4
	v_mov_b32_e32 v3, v1
	ds_write2_b64 v40, v[14:15], v[2:3] offset0:8 offset1:60
	v_mov_b32_e32 v1, v5
	v_pk_add_f32 v[2:3], v[18:19], v[16:17]
	v_pk_add_f32 v[4:5], v[18:19], v[16:17] neg_lo:[0,1] neg_hi:[0,1]
	v_pk_fma_f32 v[2:3], v[2:3], 0.5, v[6:7] op_sel_hi:[1,0,1] neg_lo:[1,0,0] neg_hi:[1,0,0]
	v_pk_mul_f32 v[4:5], v[4:5], s[2:3] op_sel_hi:[1,0]
	v_pk_add_f32 v[12:13], v[12:13], v[20:21]
	v_pk_add_f32 v[6:7], v[2:3], v[4:5] op_sel:[0,1] op_sel_hi:[1,0] neg_lo:[0,1] neg_hi:[0,1]
	v_pk_add_f32 v[2:3], v[2:3], v[4:5] op_sel:[0,1] op_sel_hi:[1,0]
	ds_write2_b64 v114, v[60:61], v[64:65] offset0:104 offset1:156
	v_mov_b32_e32 v5, v3
	v_mov_b32_e32 v3, v7
	ds_write2_b64 v43, v[8:9], v[10:11] offset0:80 offset1:132
	ds_write2_b64 v42, v[0:1], v[2:3] offset0:168 offset1:220
	;; [unrolled: 1-line block ×3, first 2 shown]
	v_pk_add_f32 v[0:1], v[22:23], v[20:21]
	v_pk_add_f32 v[2:3], v[22:23], v[20:21] neg_lo:[0,1] neg_hi:[0,1]
	v_pk_fma_f32 v[0:1], v[0:1], 0.5, v[28:29] op_sel_hi:[1,0,1] neg_lo:[1,0,0] neg_hi:[1,0,0]
	v_pk_mul_f32 v[2:3], v[2:3], s[2:3] op_sel_hi:[1,0]
	v_mov_b32_e32 v4, v6
	v_pk_add_f32 v[6:7], v[0:1], v[2:3] op_sel:[0,1] op_sel_hi:[1,0] neg_lo:[0,1] neg_hi:[0,1]
	v_pk_add_f32 v[0:1], v[0:1], v[2:3] op_sel:[0,1] op_sel_hi:[1,0]
	v_mov_b32_e32 v2, v6
	v_mov_b32_e32 v3, v1
	;; [unrolled: 1-line block ×3, first 2 shown]
	ds_write2_b64 v40, v[4:5], v[2:3] offset0:112 offset1:164
	ds_write_b64 v114, v[0:1] offset:8320
	s_waitcnt lgkmcnt(0)
	; wave barrier
	s_waitcnt lgkmcnt(0)
	s_and_saveexec_b64 s[2:3], s[0:1]
	s_cbranch_execz .LBB0_31
; %bb.30:
	v_lshl_add_u32 v10, v74, 3, 0
	ds_read2_b64 v[0:3], v10 offset1:52
	ds_read2_b64 v[4:7], v10 offset0:104 offset1:156
	v_mov_b32_e32 v75, v77
	v_add_u32_e32 v76, 52, v74
	v_lshl_add_u64 v[8:9], v[74:75], 3, v[72:73]
	s_waitcnt lgkmcnt(1)
	global_store_dwordx2 v[8:9], v[0:1], off
	v_lshl_add_u64 v[0:1], v[76:77], 3, v[72:73]
	v_add_u32_e32 v76, 0x68, v74
	global_store_dwordx2 v[0:1], v[2:3], off
	v_lshl_add_u64 v[0:1], v[76:77], 3, v[72:73]
	s_waitcnt lgkmcnt(0)
	global_store_dwordx2 v[0:1], v[4:5], off
	v_add_u32_e32 v0, 0x400, v10
	ds_read2_b64 v[0:3], v0 offset0:80 offset1:132
	v_add_u32_e32 v76, 0x9c, v74
	v_lshl_add_u64 v[4:5], v[76:77], 3, v[72:73]
	v_add_u32_e32 v76, 0xd0, v74
	global_store_dwordx2 v[4:5], v[6:7], off
	v_lshl_add_u64 v[4:5], v[76:77], 3, v[72:73]
	v_add_u32_e32 v8, 0x800, v10
	s_waitcnt lgkmcnt(0)
	global_store_dwordx2 v[4:5], v[0:1], off
	ds_read2_b64 v[4:7], v8 offset0:56 offset1:108
	v_add_u32_e32 v76, 0x104, v74
	v_lshl_add_u64 v[0:1], v[76:77], 3, v[72:73]
	v_add_u32_e32 v76, 0x138, v74
	global_store_dwordx2 v[0:1], v[2:3], off
	v_lshl_add_u64 v[0:1], v[76:77], 3, v[72:73]
	s_waitcnt lgkmcnt(0)
	global_store_dwordx2 v[0:1], v[4:5], off
	ds_read2_b64 v[0:3], v8 offset0:160 offset1:212
	v_add_u32_e32 v76, 0x16c, v74
	v_lshl_add_u64 v[4:5], v[76:77], 3, v[72:73]
	v_add_u32_e32 v76, 0x1a0, v74
	global_store_dwordx2 v[4:5], v[6:7], off
	v_lshl_add_u64 v[4:5], v[76:77], 3, v[72:73]
	v_add_u32_e32 v8, 0x1000, v10
	s_waitcnt lgkmcnt(0)
	global_store_dwordx2 v[4:5], v[0:1], off
	ds_read2_b64 v[4:7], v8 offset0:8 offset1:60
	v_add_u32_e32 v76, 0x1d4, v74
	v_lshl_add_u64 v[0:1], v[76:77], 3, v[72:73]
	v_add_u32_e32 v76, 0x208, v74
	global_store_dwordx2 v[0:1], v[2:3], off
	v_lshl_add_u64 v[0:1], v[76:77], 3, v[72:73]
	s_waitcnt lgkmcnt(0)
	global_store_dwordx2 v[0:1], v[4:5], off
	ds_read2_b64 v[0:3], v8 offset0:112 offset1:164
	v_add_u32_e32 v76, 0x23c, v74
	v_lshl_add_u64 v[4:5], v[76:77], 3, v[72:73]
	v_add_u32_e32 v76, 0x270, v74
	global_store_dwordx2 v[4:5], v[6:7], off
	v_lshl_add_u64 v[4:5], v[76:77], 3, v[72:73]
	s_waitcnt lgkmcnt(0)
	global_store_dwordx2 v[4:5], v[0:1], off
	v_add_u32_e32 v0, 0x1400, v10
	ds_read2_b64 v[4:7], v0 offset0:88 offset1:140
	v_add_u32_e32 v76, 0x2a4, v74
	v_lshl_add_u64 v[0:1], v[76:77], 3, v[72:73]
	v_add_u32_e32 v76, 0x2d8, v74
	global_store_dwordx2 v[0:1], v[2:3], off
	v_lshl_add_u64 v[0:1], v[76:77], 3, v[72:73]
	v_add_u32_e32 v8, 0x1800, v10
	s_waitcnt lgkmcnt(0)
	global_store_dwordx2 v[0:1], v[4:5], off
	ds_read2_b64 v[0:3], v8 offset0:64 offset1:116
	v_add_u32_e32 v76, 0x30c, v74
	v_lshl_add_u64 v[4:5], v[76:77], 3, v[72:73]
	v_add_u32_e32 v76, 0x340, v74
	global_store_dwordx2 v[4:5], v[6:7], off
	v_lshl_add_u64 v[4:5], v[76:77], 3, v[72:73]
	s_waitcnt lgkmcnt(0)
	global_store_dwordx2 v[4:5], v[0:1], off
	ds_read2_b64 v[4:7], v8 offset0:168 offset1:220
	v_add_u32_e32 v76, 0x374, v74
	v_lshl_add_u64 v[0:1], v[76:77], 3, v[72:73]
	v_add_u32_e32 v76, 0x3a8, v74
	global_store_dwordx2 v[0:1], v[2:3], off
	v_lshl_add_u64 v[0:1], v[76:77], 3, v[72:73]
	s_waitcnt lgkmcnt(0)
	global_store_dwordx2 v[0:1], v[4:5], off
	ds_read_b64 v[0:1], v10 offset:8320
	v_add_u32_e32 v76, 0x3dc, v74
	v_lshl_add_u64 v[2:3], v[76:77], 3, v[72:73]
	v_add_u32_e32 v76, 0x410, v74
	global_store_dwordx2 v[2:3], v[6:7], off
	v_lshl_add_u64 v[2:3], v[76:77], 3, v[72:73]
	s_waitcnt lgkmcnt(0)
	global_store_dwordx2 v[2:3], v[0:1], off
.LBB0_31:
	s_endpgm
	.section	.rodata,"a",@progbits
	.p2align	6, 0x0
	.amdhsa_kernel fft_rtc_back_len1092_factors_2_2_13_7_3_wgs_52_tpt_52_halfLds_sp_ip_CI_unitstride_sbrr_C2R_dirReg
		.amdhsa_group_segment_fixed_size 0
		.amdhsa_private_segment_fixed_size 0
		.amdhsa_kernarg_size 88
		.amdhsa_user_sgpr_count 2
		.amdhsa_user_sgpr_dispatch_ptr 0
		.amdhsa_user_sgpr_queue_ptr 0
		.amdhsa_user_sgpr_kernarg_segment_ptr 1
		.amdhsa_user_sgpr_dispatch_id 0
		.amdhsa_user_sgpr_kernarg_preload_length 0
		.amdhsa_user_sgpr_kernarg_preload_offset 0
		.amdhsa_user_sgpr_private_segment_size 0
		.amdhsa_uses_dynamic_stack 0
		.amdhsa_enable_private_segment 0
		.amdhsa_system_sgpr_workgroup_id_x 1
		.amdhsa_system_sgpr_workgroup_id_y 0
		.amdhsa_system_sgpr_workgroup_id_z 0
		.amdhsa_system_sgpr_workgroup_info 0
		.amdhsa_system_vgpr_workitem_id 0
		.amdhsa_next_free_vgpr 222
		.amdhsa_next_free_sgpr 44
		.amdhsa_accum_offset 224
		.amdhsa_reserve_vcc 1
		.amdhsa_float_round_mode_32 0
		.amdhsa_float_round_mode_16_64 0
		.amdhsa_float_denorm_mode_32 3
		.amdhsa_float_denorm_mode_16_64 3
		.amdhsa_dx10_clamp 1
		.amdhsa_ieee_mode 1
		.amdhsa_fp16_overflow 0
		.amdhsa_tg_split 0
		.amdhsa_exception_fp_ieee_invalid_op 0
		.amdhsa_exception_fp_denorm_src 0
		.amdhsa_exception_fp_ieee_div_zero 0
		.amdhsa_exception_fp_ieee_overflow 0
		.amdhsa_exception_fp_ieee_underflow 0
		.amdhsa_exception_fp_ieee_inexact 0
		.amdhsa_exception_int_div_zero 0
	.end_amdhsa_kernel
	.text
.Lfunc_end0:
	.size	fft_rtc_back_len1092_factors_2_2_13_7_3_wgs_52_tpt_52_halfLds_sp_ip_CI_unitstride_sbrr_C2R_dirReg, .Lfunc_end0-fft_rtc_back_len1092_factors_2_2_13_7_3_wgs_52_tpt_52_halfLds_sp_ip_CI_unitstride_sbrr_C2R_dirReg
                                        ; -- End function
	.section	.AMDGPU.csdata,"",@progbits
; Kernel info:
; codeLenInByte = 14980
; NumSgprs: 50
; NumVgprs: 222
; NumAgprs: 0
; TotalNumVgprs: 222
; ScratchSize: 0
; MemoryBound: 0
; FloatMode: 240
; IeeeMode: 1
; LDSByteSize: 0 bytes/workgroup (compile time only)
; SGPRBlocks: 6
; VGPRBlocks: 27
; NumSGPRsForWavesPerEU: 50
; NumVGPRsForWavesPerEU: 222
; AccumOffset: 224
; Occupancy: 2
; WaveLimiterHint : 1
; COMPUTE_PGM_RSRC2:SCRATCH_EN: 0
; COMPUTE_PGM_RSRC2:USER_SGPR: 2
; COMPUTE_PGM_RSRC2:TRAP_HANDLER: 0
; COMPUTE_PGM_RSRC2:TGID_X_EN: 1
; COMPUTE_PGM_RSRC2:TGID_Y_EN: 0
; COMPUTE_PGM_RSRC2:TGID_Z_EN: 0
; COMPUTE_PGM_RSRC2:TIDIG_COMP_CNT: 0
; COMPUTE_PGM_RSRC3_GFX90A:ACCUM_OFFSET: 55
; COMPUTE_PGM_RSRC3_GFX90A:TG_SPLIT: 0
	.text
	.p2alignl 6, 3212836864
	.fill 256, 4, 3212836864
	.type	__hip_cuid_9b3c162349988bce,@object ; @__hip_cuid_9b3c162349988bce
	.section	.bss,"aw",@nobits
	.globl	__hip_cuid_9b3c162349988bce
__hip_cuid_9b3c162349988bce:
	.byte	0                               ; 0x0
	.size	__hip_cuid_9b3c162349988bce, 1

	.ident	"AMD clang version 19.0.0git (https://github.com/RadeonOpenCompute/llvm-project roc-6.4.0 25133 c7fe45cf4b819c5991fe208aaa96edf142730f1d)"
	.section	".note.GNU-stack","",@progbits
	.addrsig
	.addrsig_sym __hip_cuid_9b3c162349988bce
	.amdgpu_metadata
---
amdhsa.kernels:
  - .agpr_count:     0
    .args:
      - .actual_access:  read_only
        .address_space:  global
        .offset:         0
        .size:           8
        .value_kind:     global_buffer
      - .offset:         8
        .size:           8
        .value_kind:     by_value
      - .actual_access:  read_only
        .address_space:  global
        .offset:         16
        .size:           8
        .value_kind:     global_buffer
      - .actual_access:  read_only
        .address_space:  global
        .offset:         24
        .size:           8
        .value_kind:     global_buffer
      - .offset:         32
        .size:           8
        .value_kind:     by_value
      - .actual_access:  read_only
        .address_space:  global
        .offset:         40
        .size:           8
        .value_kind:     global_buffer
      - .actual_access:  read_only
        .address_space:  global
        .offset:         48
        .size:           8
        .value_kind:     global_buffer
      - .offset:         56
        .size:           4
        .value_kind:     by_value
      - .actual_access:  read_only
        .address_space:  global
        .offset:         64
        .size:           8
        .value_kind:     global_buffer
      - .actual_access:  read_only
        .address_space:  global
        .offset:         72
        .size:           8
        .value_kind:     global_buffer
      - .address_space:  global
        .offset:         80
        .size:           8
        .value_kind:     global_buffer
    .group_segment_fixed_size: 0
    .kernarg_segment_align: 8
    .kernarg_segment_size: 88
    .language:       OpenCL C
    .language_version:
      - 2
      - 0
    .max_flat_workgroup_size: 52
    .name:           fft_rtc_back_len1092_factors_2_2_13_7_3_wgs_52_tpt_52_halfLds_sp_ip_CI_unitstride_sbrr_C2R_dirReg
    .private_segment_fixed_size: 0
    .sgpr_count:     50
    .sgpr_spill_count: 0
    .symbol:         fft_rtc_back_len1092_factors_2_2_13_7_3_wgs_52_tpt_52_halfLds_sp_ip_CI_unitstride_sbrr_C2R_dirReg.kd
    .uniform_work_group_size: 1
    .uses_dynamic_stack: false
    .vgpr_count:     222
    .vgpr_spill_count: 0
    .wavefront_size: 64
amdhsa.target:   amdgcn-amd-amdhsa--gfx950
amdhsa.version:
  - 1
  - 2
...

	.end_amdgpu_metadata
